;; amdgpu-corpus repo=ROCm/rocFFT kind=compiled arch=gfx1201 opt=O3
	.text
	.amdgcn_target "amdgcn-amd-amdhsa--gfx1201"
	.amdhsa_code_object_version 6
	.protected	fft_rtc_back_len1650_factors_11_2_3_5_5_wgs_110_tpt_110_halfLds_dp_op_CI_CI_sbrr_dirReg ; -- Begin function fft_rtc_back_len1650_factors_11_2_3_5_5_wgs_110_tpt_110_halfLds_dp_op_CI_CI_sbrr_dirReg
	.globl	fft_rtc_back_len1650_factors_11_2_3_5_5_wgs_110_tpt_110_halfLds_dp_op_CI_CI_sbrr_dirReg
	.p2align	8
	.type	fft_rtc_back_len1650_factors_11_2_3_5_5_wgs_110_tpt_110_halfLds_dp_op_CI_CI_sbrr_dirReg,@function
fft_rtc_back_len1650_factors_11_2_3_5_5_wgs_110_tpt_110_halfLds_dp_op_CI_CI_sbrr_dirReg: ; @fft_rtc_back_len1650_factors_11_2_3_5_5_wgs_110_tpt_110_halfLds_dp_op_CI_CI_sbrr_dirReg
; %bb.0:
	s_clause 0x2
	s_load_b128 s[12:15], s[0:1], 0x18
	s_load_b128 s[8:11], s[0:1], 0x0
	;; [unrolled: 1-line block ×3, first 2 shown]
	v_mul_u32_u24_e32 v1, 0x254, v0
	v_mov_b32_e32 v4, 0
	v_mov_b32_e32 v5, 0
	s_wait_kmcnt 0x0
	s_load_b64 s[18:19], s[12:13], 0x0
	s_load_b64 s[16:17], s[14:15], 0x0
	v_lshrrev_b32_e32 v2, 16, v1
	v_mov_b32_e32 v1, 0
	v_cmp_lt_u64_e64 s2, s[10:11], 2
	s_delay_alu instid0(VALU_DEP_2) | instskip(NEXT) | instid1(VALU_DEP_2)
	v_dual_mov_b32 v7, v1 :: v_dual_add_nc_u32 v6, ttmp9, v2
	s_and_b32 vcc_lo, exec_lo, s2
	s_cbranch_vccnz .LBB0_8
; %bb.1:
	s_load_b64 s[2:3], s[0:1], 0x10
	v_mov_b32_e32 v4, 0
	v_mov_b32_e32 v5, 0
	s_add_nc_u64 s[20:21], s[14:15], 8
	s_add_nc_u64 s[22:23], s[12:13], 8
	s_mov_b64 s[24:25], 1
	s_delay_alu instid0(VALU_DEP_1)
	v_dual_mov_b32 v117, v5 :: v_dual_mov_b32 v116, v4
	s_wait_kmcnt 0x0
	s_add_nc_u64 s[26:27], s[2:3], 8
	s_mov_b32 s3, 0
.LBB0_2:                                ; =>This Inner Loop Header: Depth=1
	s_load_b64 s[28:29], s[26:27], 0x0
                                        ; implicit-def: $vgpr118_vgpr119
	s_mov_b32 s2, exec_lo
	s_wait_kmcnt 0x0
	v_or_b32_e32 v2, s29, v7
	s_delay_alu instid0(VALU_DEP_1)
	v_cmpx_ne_u64_e32 0, v[1:2]
	s_wait_alu 0xfffe
	s_xor_b32 s30, exec_lo, s2
	s_cbranch_execz .LBB0_4
; %bb.3:                                ;   in Loop: Header=BB0_2 Depth=1
	s_cvt_f32_u32 s2, s28
	s_cvt_f32_u32 s31, s29
	s_sub_nc_u64 s[36:37], 0, s[28:29]
	s_wait_alu 0xfffe
	s_delay_alu instid0(SALU_CYCLE_1) | instskip(SKIP_1) | instid1(SALU_CYCLE_2)
	s_fmamk_f32 s2, s31, 0x4f800000, s2
	s_wait_alu 0xfffe
	v_s_rcp_f32 s2, s2
	s_delay_alu instid0(TRANS32_DEP_1) | instskip(SKIP_1) | instid1(SALU_CYCLE_2)
	s_mul_f32 s2, s2, 0x5f7ffffc
	s_wait_alu 0xfffe
	s_mul_f32 s31, s2, 0x2f800000
	s_wait_alu 0xfffe
	s_delay_alu instid0(SALU_CYCLE_2) | instskip(SKIP_1) | instid1(SALU_CYCLE_2)
	s_trunc_f32 s31, s31
	s_wait_alu 0xfffe
	s_fmamk_f32 s2, s31, 0xcf800000, s2
	s_cvt_u32_f32 s35, s31
	s_wait_alu 0xfffe
	s_delay_alu instid0(SALU_CYCLE_1) | instskip(SKIP_1) | instid1(SALU_CYCLE_2)
	s_cvt_u32_f32 s34, s2
	s_wait_alu 0xfffe
	s_mul_u64 s[38:39], s[36:37], s[34:35]
	s_wait_alu 0xfffe
	s_mul_hi_u32 s41, s34, s39
	s_mul_i32 s40, s34, s39
	s_mul_hi_u32 s2, s34, s38
	s_mul_i32 s33, s35, s38
	s_wait_alu 0xfffe
	s_add_nc_u64 s[40:41], s[2:3], s[40:41]
	s_mul_hi_u32 s31, s35, s38
	s_mul_hi_u32 s42, s35, s39
	s_add_co_u32 s2, s40, s33
	s_wait_alu 0xfffe
	s_add_co_ci_u32 s2, s41, s31
	s_mul_i32 s38, s35, s39
	s_add_co_ci_u32 s39, s42, 0
	s_wait_alu 0xfffe
	s_add_nc_u64 s[38:39], s[2:3], s[38:39]
	s_wait_alu 0xfffe
	v_add_co_u32 v2, s2, s34, s38
	s_delay_alu instid0(VALU_DEP_1) | instskip(SKIP_1) | instid1(VALU_DEP_1)
	s_cmp_lg_u32 s2, 0
	s_add_co_ci_u32 s35, s35, s39
	v_readfirstlane_b32 s34, v2
	s_wait_alu 0xfffe
	s_delay_alu instid0(VALU_DEP_1)
	s_mul_u64 s[36:37], s[36:37], s[34:35]
	s_wait_alu 0xfffe
	s_mul_hi_u32 s39, s34, s37
	s_mul_i32 s38, s34, s37
	s_mul_hi_u32 s2, s34, s36
	s_mul_i32 s33, s35, s36
	s_wait_alu 0xfffe
	s_add_nc_u64 s[38:39], s[2:3], s[38:39]
	s_mul_hi_u32 s31, s35, s36
	s_mul_hi_u32 s34, s35, s37
	s_wait_alu 0xfffe
	s_add_co_u32 s2, s38, s33
	s_add_co_ci_u32 s2, s39, s31
	s_mul_i32 s36, s35, s37
	s_add_co_ci_u32 s37, s34, 0
	s_wait_alu 0xfffe
	s_add_nc_u64 s[36:37], s[2:3], s[36:37]
	s_wait_alu 0xfffe
	v_add_co_u32 v8, s2, v2, s36
	s_delay_alu instid0(VALU_DEP_1) | instskip(SKIP_1) | instid1(VALU_DEP_1)
	s_cmp_lg_u32 s2, 0
	s_add_co_ci_u32 s2, s35, s37
	v_mul_hi_u32 v12, v6, v8
	s_wait_alu 0xfffe
	v_mad_co_u64_u32 v[2:3], null, v6, s2, 0
	v_mad_co_u64_u32 v[8:9], null, v7, v8, 0
	;; [unrolled: 1-line block ×3, first 2 shown]
	s_delay_alu instid0(VALU_DEP_3) | instskip(SKIP_1) | instid1(VALU_DEP_4)
	v_add_co_u32 v2, vcc_lo, v12, v2
	s_wait_alu 0xfffd
	v_add_co_ci_u32_e32 v3, vcc_lo, 0, v3, vcc_lo
	s_delay_alu instid0(VALU_DEP_2) | instskip(SKIP_1) | instid1(VALU_DEP_2)
	v_add_co_u32 v2, vcc_lo, v2, v8
	s_wait_alu 0xfffd
	v_add_co_ci_u32_e32 v2, vcc_lo, v3, v9, vcc_lo
	s_wait_alu 0xfffd
	v_add_co_ci_u32_e32 v3, vcc_lo, 0, v11, vcc_lo
	s_delay_alu instid0(VALU_DEP_2) | instskip(SKIP_1) | instid1(VALU_DEP_2)
	v_add_co_u32 v8, vcc_lo, v2, v10
	s_wait_alu 0xfffd
	v_add_co_ci_u32_e32 v9, vcc_lo, 0, v3, vcc_lo
	s_delay_alu instid0(VALU_DEP_2) | instskip(SKIP_1) | instid1(VALU_DEP_3)
	v_mul_lo_u32 v10, s29, v8
	v_mad_co_u64_u32 v[2:3], null, s28, v8, 0
	v_mul_lo_u32 v11, s28, v9
	s_delay_alu instid0(VALU_DEP_2) | instskip(NEXT) | instid1(VALU_DEP_2)
	v_sub_co_u32 v2, vcc_lo, v6, v2
	v_add3_u32 v3, v3, v11, v10
	s_delay_alu instid0(VALU_DEP_1) | instskip(SKIP_1) | instid1(VALU_DEP_1)
	v_sub_nc_u32_e32 v10, v7, v3
	s_wait_alu 0xfffd
	v_subrev_co_ci_u32_e64 v10, s2, s29, v10, vcc_lo
	v_add_co_u32 v11, s2, v8, 2
	s_wait_alu 0xf1ff
	v_add_co_ci_u32_e64 v12, s2, 0, v9, s2
	v_sub_co_u32 v13, s2, v2, s28
	v_sub_co_ci_u32_e32 v3, vcc_lo, v7, v3, vcc_lo
	s_wait_alu 0xf1ff
	v_subrev_co_ci_u32_e64 v10, s2, 0, v10, s2
	s_delay_alu instid0(VALU_DEP_3) | instskip(NEXT) | instid1(VALU_DEP_3)
	v_cmp_le_u32_e32 vcc_lo, s28, v13
	v_cmp_eq_u32_e64 s2, s29, v3
	s_wait_alu 0xfffd
	v_cndmask_b32_e64 v13, 0, -1, vcc_lo
	v_cmp_le_u32_e32 vcc_lo, s29, v10
	s_wait_alu 0xfffd
	v_cndmask_b32_e64 v14, 0, -1, vcc_lo
	v_cmp_le_u32_e32 vcc_lo, s28, v2
	;; [unrolled: 3-line block ×3, first 2 shown]
	s_wait_alu 0xfffd
	v_cndmask_b32_e64 v15, 0, -1, vcc_lo
	v_cmp_eq_u32_e32 vcc_lo, s29, v10
	s_wait_alu 0xf1ff
	s_delay_alu instid0(VALU_DEP_2)
	v_cndmask_b32_e64 v2, v15, v2, s2
	s_wait_alu 0xfffd
	v_cndmask_b32_e32 v10, v14, v13, vcc_lo
	v_add_co_u32 v13, vcc_lo, v8, 1
	s_wait_alu 0xfffd
	v_add_co_ci_u32_e32 v14, vcc_lo, 0, v9, vcc_lo
	s_delay_alu instid0(VALU_DEP_3) | instskip(SKIP_1) | instid1(VALU_DEP_2)
	v_cmp_ne_u32_e32 vcc_lo, 0, v10
	s_wait_alu 0xfffd
	v_dual_cndmask_b32 v3, v14, v12 :: v_dual_cndmask_b32 v10, v13, v11
	v_cmp_ne_u32_e32 vcc_lo, 0, v2
	s_wait_alu 0xfffd
	s_delay_alu instid0(VALU_DEP_2)
	v_dual_cndmask_b32 v119, v9, v3 :: v_dual_cndmask_b32 v118, v8, v10
.LBB0_4:                                ;   in Loop: Header=BB0_2 Depth=1
	s_wait_alu 0xfffe
	s_and_not1_saveexec_b32 s2, s30
	s_cbranch_execz .LBB0_6
; %bb.5:                                ;   in Loop: Header=BB0_2 Depth=1
	v_cvt_f32_u32_e32 v2, s28
	s_sub_co_i32 s30, 0, s28
	v_mov_b32_e32 v119, v1
	s_delay_alu instid0(VALU_DEP_2) | instskip(NEXT) | instid1(TRANS32_DEP_1)
	v_rcp_iflag_f32_e32 v2, v2
	v_mul_f32_e32 v2, 0x4f7ffffe, v2
	s_delay_alu instid0(VALU_DEP_1) | instskip(SKIP_1) | instid1(VALU_DEP_1)
	v_cvt_u32_f32_e32 v2, v2
	s_wait_alu 0xfffe
	v_mul_lo_u32 v3, s30, v2
	s_delay_alu instid0(VALU_DEP_1) | instskip(NEXT) | instid1(VALU_DEP_1)
	v_mul_hi_u32 v3, v2, v3
	v_add_nc_u32_e32 v2, v2, v3
	s_delay_alu instid0(VALU_DEP_1) | instskip(NEXT) | instid1(VALU_DEP_1)
	v_mul_hi_u32 v2, v6, v2
	v_mul_lo_u32 v3, v2, s28
	v_add_nc_u32_e32 v8, 1, v2
	s_delay_alu instid0(VALU_DEP_2) | instskip(NEXT) | instid1(VALU_DEP_1)
	v_sub_nc_u32_e32 v3, v6, v3
	v_subrev_nc_u32_e32 v9, s28, v3
	v_cmp_le_u32_e32 vcc_lo, s28, v3
	s_wait_alu 0xfffd
	s_delay_alu instid0(VALU_DEP_2) | instskip(NEXT) | instid1(VALU_DEP_1)
	v_dual_cndmask_b32 v3, v3, v9 :: v_dual_cndmask_b32 v2, v2, v8
	v_cmp_le_u32_e32 vcc_lo, s28, v3
	s_delay_alu instid0(VALU_DEP_2) | instskip(SKIP_1) | instid1(VALU_DEP_1)
	v_add_nc_u32_e32 v8, 1, v2
	s_wait_alu 0xfffd
	v_cndmask_b32_e32 v118, v2, v8, vcc_lo
.LBB0_6:                                ;   in Loop: Header=BB0_2 Depth=1
	s_wait_alu 0xfffe
	s_or_b32 exec_lo, exec_lo, s2
	v_mul_lo_u32 v8, v119, s28
	s_delay_alu instid0(VALU_DEP_2)
	v_mul_lo_u32 v9, v118, s29
	s_load_b64 s[30:31], s[22:23], 0x0
	v_mad_co_u64_u32 v[2:3], null, v118, s28, 0
	s_load_b64 s[28:29], s[20:21], 0x0
	s_add_nc_u64 s[24:25], s[24:25], 1
	s_add_nc_u64 s[20:21], s[20:21], 8
	s_wait_alu 0xfffe
	v_cmp_ge_u64_e64 s2, s[24:25], s[10:11]
	s_add_nc_u64 s[22:23], s[22:23], 8
	s_add_nc_u64 s[26:27], s[26:27], 8
	v_add3_u32 v3, v3, v9, v8
	v_sub_co_u32 v2, vcc_lo, v6, v2
	s_wait_alu 0xfffd
	s_delay_alu instid0(VALU_DEP_2) | instskip(SKIP_2) | instid1(VALU_DEP_1)
	v_sub_co_ci_u32_e32 v3, vcc_lo, v7, v3, vcc_lo
	s_and_b32 vcc_lo, exec_lo, s2
	s_wait_kmcnt 0x0
	v_mul_lo_u32 v6, s30, v3
	v_mul_lo_u32 v7, s31, v2
	v_mad_co_u64_u32 v[4:5], null, s30, v2, v[4:5]
	v_mul_lo_u32 v3, s28, v3
	v_mul_lo_u32 v8, s29, v2
	v_mad_co_u64_u32 v[116:117], null, s28, v2, v[116:117]
	s_delay_alu instid0(VALU_DEP_4) | instskip(NEXT) | instid1(VALU_DEP_2)
	v_add3_u32 v5, v7, v5, v6
	v_add3_u32 v117, v8, v117, v3
	s_wait_alu 0xfffe
	s_cbranch_vccnz .LBB0_9
; %bb.7:                                ;   in Loop: Header=BB0_2 Depth=1
	v_dual_mov_b32 v6, v118 :: v_dual_mov_b32 v7, v119
	s_branch .LBB0_2
.LBB0_8:
	v_dual_mov_b32 v117, v5 :: v_dual_mov_b32 v116, v4
	s_delay_alu instid0(VALU_DEP_2)
	v_dual_mov_b32 v119, v7 :: v_dual_mov_b32 v118, v6
.LBB0_9:
	s_load_b64 s[0:1], s[0:1], 0x28
	v_mul_hi_u32 v1, 0x253c826, v0
	s_lshl_b64 s[10:11], s[10:11], 3
                                        ; implicit-def: $vgpr134
	s_wait_alu 0xfffe
	s_add_nc_u64 s[2:3], s[14:15], s[10:11]
	s_wait_kmcnt 0x0
	v_cmp_gt_u64_e32 vcc_lo, s[0:1], v[118:119]
	v_cmp_le_u64_e64 s0, s[0:1], v[118:119]
	s_delay_alu instid0(VALU_DEP_1)
	s_and_saveexec_b32 s1, s0
	s_wait_alu 0xfffe
	s_xor_b32 s0, exec_lo, s1
; %bb.10:
	v_mul_u32_u24_e32 v1, 0x6e, v1
                                        ; implicit-def: $vgpr4_vgpr5
	s_delay_alu instid0(VALU_DEP_1)
	v_sub_nc_u32_e32 v134, v0, v1
                                        ; implicit-def: $vgpr1
                                        ; implicit-def: $vgpr0
; %bb.11:
	s_wait_alu 0xfffe
	s_or_saveexec_b32 s1, s0
	s_load_b64 s[2:3], s[2:3], 0x0
                                        ; implicit-def: $vgpr22_vgpr23
                                        ; implicit-def: $vgpr26_vgpr27
                                        ; implicit-def: $vgpr34_vgpr35
                                        ; implicit-def: $vgpr62_vgpr63
                                        ; implicit-def: $vgpr70_vgpr71
                                        ; implicit-def: $vgpr74_vgpr75
                                        ; implicit-def: $vgpr86_vgpr87
                                        ; implicit-def: $vgpr54_vgpr55
                                        ; implicit-def: $vgpr50_vgpr51
                                        ; implicit-def: $vgpr38_vgpr39
                                        ; implicit-def: $vgpr2_vgpr3
                                        ; implicit-def: $vgpr6_vgpr7
                                        ; implicit-def: $vgpr10_vgpr11
                                        ; implicit-def: $vgpr18_vgpr19
                                        ; implicit-def: $vgpr46_vgpr47
                                        ; implicit-def: $vgpr42_vgpr43
                                        ; implicit-def: $vgpr30_vgpr31
                                        ; implicit-def: $vgpr66_vgpr67
                                        ; implicit-def: $vgpr58_vgpr59
                                        ; implicit-def: $vgpr78_vgpr79
                                        ; implicit-def: $vgpr82_vgpr83
                                        ; implicit-def: $vgpr14_vgpr15
	s_xor_b32 exec_lo, exec_lo, s1
	s_cbranch_execz .LBB0_15
; %bb.12:
	s_add_nc_u64 s[10:11], s[12:13], s[10:11]
	v_mul_u32_u24_e32 v1, 0x6e, v1
	s_load_b64 s[10:11], s[10:11], 0x0
	v_lshlrev_b64_e32 v[4:5], 4, v[4:5]
                                        ; implicit-def: $vgpr36_vgpr37
                                        ; implicit-def: $vgpr48_vgpr49
                                        ; implicit-def: $vgpr52_vgpr53
                                        ; implicit-def: $vgpr84_vgpr85
                                        ; implicit-def: $vgpr72_vgpr73
                                        ; implicit-def: $vgpr68_vgpr69
                                        ; implicit-def: $vgpr60_vgpr61
                                        ; implicit-def: $vgpr32_vgpr33
	s_delay_alu instid0(VALU_DEP_2) | instskip(NEXT) | instid1(VALU_DEP_1)
	v_sub_nc_u32_e32 v134, v0, v1
	v_add_nc_u32_e32 v14, 0x96, v134
	v_mad_co_u64_u32 v[0:1], null, s18, v134, 0
	v_add_nc_u32_e32 v15, 0x12c, v134
	v_add_nc_u32_e32 v19, 0x258, v134
	s_delay_alu instid0(VALU_DEP_4) | instskip(SKIP_1) | instid1(VALU_DEP_4)
	v_mad_co_u64_u32 v[2:3], null, s18, v14, 0
	v_add_nc_u32_e32 v24, 0x5dc, v134
	v_mad_co_u64_u32 v[6:7], null, s18, v15, 0
	s_delay_alu instid0(VALU_DEP_4)
	v_mad_co_u64_u32 v[16:17], null, s18, v19, 0
	s_wait_kmcnt 0x0
	v_mul_lo_u32 v20, s11, v118
	v_mul_lo_u32 v21, s10, v119
	v_mad_co_u64_u32 v[8:9], null, s10, v118, 0
	v_mad_co_u64_u32 v[12:13], null, s19, v134, v[1:2]
	s_delay_alu instid0(VALU_DEP_2) | instskip(SKIP_1) | instid1(VALU_DEP_3)
	v_add3_u32 v9, v9, v21, v20
	v_add_nc_u32_e32 v21, 0x546, v134
	v_mov_b32_e32 v1, v12
	v_mad_co_u64_u32 v[12:13], null, s19, v14, v[3:4]
	s_delay_alu instid0(VALU_DEP_4) | instskip(SKIP_1) | instid1(VALU_DEP_4)
	v_lshlrev_b64_e32 v[8:9], 4, v[8:9]
	v_add_nc_u32_e32 v18, 0x1c2, v134
	v_lshlrev_b64_e32 v[0:1], 4, v[0:1]
	s_delay_alu instid0(VALU_DEP_4) | instskip(NEXT) | instid1(VALU_DEP_4)
	v_mov_b32_e32 v3, v12
	v_mad_co_u64_u32 v[13:14], null, s19, v15, v[7:8]
	v_add_co_u32 v7, s0, s4, v8
	v_mad_co_u64_u32 v[10:11], null, s18, v18, 0
	s_wait_alu 0xf1ff
	v_add_co_ci_u32_e64 v8, s0, s5, v9, s0
	s_delay_alu instid0(VALU_DEP_3) | instskip(SKIP_2) | instid1(VALU_DEP_3)
	v_add_co_u32 v22, s0, v7, v4
	v_lshlrev_b64_e32 v[2:3], 4, v[2:3]
	s_wait_alu 0xf1ff
	v_add_co_ci_u32_e64 v23, s0, v8, v5, s0
	s_delay_alu instid0(VALU_DEP_3)
	v_add_co_u32 v0, s0, v22, v0
	v_mad_co_u64_u32 v[4:5], null, s19, v18, v[11:12]
	v_dual_mov_b32 v7, v13 :: v_dual_add_nc_u32 v20, 0x2ee, v134
	s_wait_alu 0xf1ff
	v_add_co_ci_u32_e64 v1, s0, v23, v1, s0
	v_add_co_u32 v2, s0, v22, v2
	v_dual_mov_b32 v5, v17 :: v_dual_add_nc_u32 v18, 0x41a, v134
	s_wait_alu 0xf1ff
	v_add_co_ci_u32_e64 v3, s0, v23, v3, s0
	v_mad_co_u64_u32 v[8:9], null, s18, v20, 0
	v_mov_b32_e32 v11, v4
	s_clause 0x1
	global_load_b128 v[12:15], v[0:1], off
	global_load_b128 v[80:83], v[2:3], off
	v_mad_co_u64_u32 v[2:3], null, s19, v19, v[5:6]
	v_lshlrev_b64_e32 v[0:1], 4, v[6:7]
	v_lshlrev_b64_e32 v[4:5], 4, v[10:11]
	v_mov_b32_e32 v3, v9
	s_mov_b32 s4, exec_lo
	s_delay_alu instid0(VALU_DEP_3)
	v_add_co_u32 v0, s0, v22, v0
	v_mov_b32_e32 v17, v2
	s_wait_alu 0xf1ff
	v_add_co_ci_u32_e64 v1, s0, v23, v1, s0
	v_mad_co_u64_u32 v[2:3], null, s19, v20, v[3:4]
	v_add_co_u32 v3, s0, v22, v4
	s_wait_alu 0xf1ff
	v_add_co_ci_u32_e64 v4, s0, v23, v5, s0
	v_lshlrev_b64_e32 v[5:6], 4, v[16:17]
	v_mad_co_u64_u32 v[16:17], null, s18, v21, 0
	v_add_nc_u32_e32 v7, 0x384, v134
	v_mov_b32_e32 v9, v2
	s_clause 0x1
	global_load_b128 v[76:79], v[0:1], off
	global_load_b128 v[56:59], v[3:4], off
	v_add_nc_u32_e32 v20, 0x4b0, v134
	v_add_co_u32 v0, s0, v22, v5
	v_mad_co_u64_u32 v[10:11], null, s18, v7, 0
	v_lshlrev_b64_e32 v[3:4], 4, v[8:9]
	s_wait_alu 0xf1ff
	v_add_co_ci_u32_e64 v1, s0, v23, v6, s0
	v_mad_co_u64_u32 v[8:9], null, s18, v20, 0
	s_delay_alu instid0(VALU_DEP_4) | instskip(NEXT) | instid1(VALU_DEP_1)
	v_mov_b32_e32 v2, v11
	v_mad_co_u64_u32 v[5:6], null, s19, v7, v[2:3]
	v_mad_co_u64_u32 v[6:7], null, s18, v18, 0
	v_add_co_u32 v2, s0, v22, v3
	s_wait_alu 0xf1ff
	v_add_co_ci_u32_e64 v3, s0, v23, v4, s0
	s_delay_alu instid0(VALU_DEP_4) | instskip(NEXT) | instid1(VALU_DEP_4)
	v_mov_b32_e32 v11, v5
	v_dual_mov_b32 v5, v9 :: v_dual_mov_b32 v4, v7
	s_clause 0x1
	global_load_b128 v[64:67], v[0:1], off
	global_load_b128 v[28:31], v[2:3], off
	v_mov_b32_e32 v0, v17
	v_lshlrev_b64_e32 v[1:2], 4, v[10:11]
	v_mad_co_u64_u32 v[18:19], null, s19, v18, v[4:5]
	v_mad_co_u64_u32 v[4:5], null, s19, v20, v[5:6]
	;; [unrolled: 1-line block ×3, first 2 shown]
	s_delay_alu instid0(VALU_DEP_3) | instskip(NEXT) | instid1(VALU_DEP_3)
	v_mov_b32_e32 v7, v18
	v_mov_b32_e32 v9, v4
	v_mad_co_u64_u32 v[3:4], null, s19, v21, v[0:1]
	s_delay_alu instid0(VALU_DEP_4) | instskip(SKIP_4) | instid1(VALU_DEP_3)
	v_mov_b32_e32 v0, v20
	v_add_co_u32 v1, s0, v22, v1
	v_lshlrev_b64_e32 v[4:5], 4, v[6:7]
	s_wait_alu 0xf1ff
	v_add_co_ci_u32_e64 v2, s0, v23, v2, s0
	v_mad_co_u64_u32 v[6:7], null, s19, v24, v[0:1]
	v_lshlrev_b64_e32 v[7:8], 4, v[8:9]
	v_mov_b32_e32 v17, v3
	v_add_co_u32 v3, s0, v22, v4
	s_wait_alu 0xf1ff
	v_add_co_ci_u32_e64 v4, s0, v23, v5, s0
	v_mov_b32_e32 v20, v6
	v_lshlrev_b64_e32 v[9:10], 4, v[16:17]
	v_add_co_u32 v5, s0, v22, v7
	s_wait_alu 0xf1ff
	v_add_co_ci_u32_e64 v6, s0, v23, v8, s0
	v_lshlrev_b64_e32 v[7:8], 4, v[19:20]
	s_delay_alu instid0(VALU_DEP_4) | instskip(SKIP_2) | instid1(VALU_DEP_3)
	v_add_co_u32 v9, s0, v22, v9
	s_wait_alu 0xf1ff
	v_add_co_ci_u32_e64 v10, s0, v23, v10, s0
                                        ; implicit-def: $vgpr24_vgpr25
	v_add_co_u32 v20, s0, v22, v7
	s_wait_alu 0xf1ff
	v_add_co_ci_u32_e64 v21, s0, v23, v8, s0
	s_clause 0x4
	global_load_b128 v[40:43], v[1:2], off
	global_load_b128 v[44:47], v[3:4], off
	;; [unrolled: 1-line block ×5, first 2 shown]
                                        ; implicit-def: $vgpr0_vgpr1
                                        ; implicit-def: $vgpr20_vgpr21
	v_cmpx_gt_u32_e32 40, v134
	s_cbranch_execz .LBB0_14
; %bb.13:
	v_add_nc_u32_e32 v26, 0x104, v134
	v_add_nc_u32_e32 v36, 0x230, v134
	;; [unrolled: 1-line block ×5, first 2 shown]
	v_mad_co_u64_u32 v[2:3], null, s18, v26, 0
	v_mad_co_u64_u32 v[32:33], null, s18, v36, 0
	v_mad_co_u64_u32 v[24:25], null, s18, v34, 0
	v_add_nc_u32_e32 v49, 0x35c, v134
	v_mad_co_u64_u32 v[62:63], null, s18, v70, 0
	s_wait_loadcnt 0x0
	v_mad_co_u64_u32 v[26:27], null, s19, v26, v[3:4]
	s_delay_alu instid0(VALU_DEP_1) | instskip(NEXT) | instid1(VALU_DEP_1)
	v_dual_mov_b32 v3, v26 :: v_dual_add_nc_u32 v20, 0x6e, v134
	v_mad_co_u64_u32 v[0:1], null, s18, v20, 0
	v_mov_b32_e32 v26, v33
	v_mad_co_u64_u32 v[60:61], null, s18, v49, 0
	s_delay_alu instid0(VALU_DEP_2) | instskip(NEXT) | instid1(VALU_DEP_4)
	v_mad_co_u64_u32 v[33:34], null, s19, v34, v[25:26]
	v_mad_co_u64_u32 v[20:21], null, s19, v20, v[1:2]
	v_lshlrev_b64_e32 v[2:3], 4, v[2:3]
	v_mad_co_u64_u32 v[26:27], null, s19, v36, v[26:27]
	s_delay_alu instid0(VALU_DEP_4) | instskip(NEXT) | instid1(VALU_DEP_4)
	v_mov_b32_e32 v25, v33
	v_mov_b32_e32 v1, v20
	v_mad_co_u64_u32 v[20:21], null, s18, v48, 0
	s_delay_alu instid0(VALU_DEP_4) | instskip(NEXT) | instid1(VALU_DEP_3)
	v_dual_mov_b32 v33, v26 :: v_dual_mov_b32 v26, v61
	v_lshlrev_b64_e32 v[0:1], 4, v[0:1]
	v_lshlrev_b64_e32 v[24:25], 4, v[24:25]
	s_delay_alu instid0(VALU_DEP_3) | instskip(NEXT) | instid1(VALU_DEP_4)
	v_lshlrev_b64_e32 v[32:33], 4, v[32:33]
	v_mad_co_u64_u32 v[26:27], null, s19, v49, v[26:27]
	v_add_nc_u32_e32 v27, 0x3f2, v134
	v_add_co_u32 v0, s0, v22, v0
	s_wait_alu 0xf1ff
	v_add_co_ci_u32_e64 v1, s0, v23, v1, s0
	v_add_co_u32 v34, s0, v22, v2
	s_wait_alu 0xf1ff
	v_add_co_ci_u32_e64 v35, s0, v23, v3, s0
	s_clause 0x1
	global_load_b128 v[0:3], v[0:1], off
	global_load_b128 v[36:39], v[34:35], off
	v_mad_co_u64_u32 v[34:35], null, s19, v48, v[21:22]
	v_add_co_u32 v24, s0, v22, v24
	s_wait_alu 0xf1ff
	v_add_co_ci_u32_e64 v25, s0, v23, v25, s0
	v_add_co_u32 v32, s0, v22, v32
	s_delay_alu instid0(VALU_DEP_4)
	v_mov_b32_e32 v21, v34
	v_mad_co_u64_u32 v[34:35], null, s18, v27, 0
	v_mov_b32_e32 v61, v26
	s_wait_alu 0xf1ff
	v_add_co_ci_u32_e64 v33, s0, v23, v33, s0
	s_clause 0x1
	global_load_b128 v[48:51], v[24:25], off
	global_load_b128 v[52:55], v[32:33], off
	v_mov_b32_e32 v24, v35
	v_lshlrev_b64_e32 v[25:26], 4, v[60:61]
	v_lshlrev_b64_e32 v[20:21], 4, v[20:21]
	s_delay_alu instid0(VALU_DEP_2) | instskip(SKIP_1) | instid1(VALU_DEP_3)
	v_mad_co_u64_u32 v[32:33], null, s19, v27, v[24:25]
	v_add_nc_u32_e32 v68, 0x488, v134
	v_add_co_u32 v20, s0, v22, v20
	s_wait_alu 0xf1ff
	s_delay_alu instid0(VALU_DEP_4)
	v_add_co_ci_u32_e64 v21, s0, v23, v21, s0
	v_add_co_u32 v24, s0, v22, v25
	v_mov_b32_e32 v35, v32
	v_mad_co_u64_u32 v[60:61], null, s18, v68, 0
	s_wait_alu 0xf1ff
	v_add_co_ci_u32_e64 v25, s0, v23, v26, s0
	v_add_nc_u32_e32 v71, 0x5b4, v134
	v_mov_b32_e32 v27, v63
	s_clause 0x1
	global_load_b128 v[84:87], v[20:21], off
	global_load_b128 v[72:75], v[24:25], off
	v_lshlrev_b64_e32 v[24:25], 4, v[34:35]
	v_mov_b32_e32 v26, v61
	v_mad_co_u64_u32 v[32:33], null, s18, v71, 0
	s_delay_alu instid0(VALU_DEP_2) | instskip(SKIP_2) | instid1(VALU_DEP_4)
	v_mad_co_u64_u32 v[68:69], null, s19, v68, v[26:27]
	v_add_nc_u32_e32 v88, 0x64a, v134
	v_mad_co_u64_u32 v[26:27], null, s19, v70, v[27:28]
	v_mov_b32_e32 v20, v33
	v_add_co_u32 v24, s0, v22, v24
	v_mov_b32_e32 v61, v68
	v_mad_co_u64_u32 v[69:70], null, s18, v88, 0
	v_mov_b32_e32 v63, v26
	v_mad_co_u64_u32 v[20:21], null, s19, v71, v[20:21]
	s_delay_alu instid0(VALU_DEP_4)
	v_lshlrev_b64_e32 v[26:27], 4, v[60:61]
	s_wait_alu 0xf1ff
	v_add_co_ci_u32_e64 v25, s0, v23, v25, s0
	v_mov_b32_e32 v21, v70
	v_lshlrev_b64_e32 v[60:61], 4, v[62:63]
	v_mov_b32_e32 v33, v20
	v_add_co_u32 v20, s0, v22, v26
	s_delay_alu instid0(VALU_DEP_4)
	v_mad_co_u64_u32 v[34:35], null, s19, v88, v[21:22]
	s_wait_alu 0xf1ff
	v_add_co_ci_u32_e64 v21, s0, v23, v27, s0
	v_lshlrev_b64_e32 v[26:27], 4, v[32:33]
	v_add_co_u32 v32, s0, v22, v60
	s_wait_alu 0xf1ff
	v_add_co_ci_u32_e64 v33, s0, v23, v61, s0
	v_mov_b32_e32 v70, v34
	s_delay_alu instid0(VALU_DEP_4) | instskip(SKIP_2) | instid1(VALU_DEP_3)
	v_add_co_u32 v26, s0, v22, v26
	s_wait_alu 0xf1ff
	v_add_co_ci_u32_e64 v27, s0, v23, v27, s0
	v_lshlrev_b64_e32 v[34:35], 4, v[69:70]
	s_delay_alu instid0(VALU_DEP_1) | instskip(SKIP_1) | instid1(VALU_DEP_2)
	v_add_co_u32 v22, s0, v22, v34
	s_wait_alu 0xf1ff
	v_add_co_ci_u32_e64 v23, s0, v23, v35, s0
	s_clause 0x4
	global_load_b128 v[68:71], v[24:25], off
	global_load_b128 v[60:63], v[20:21], off
	;; [unrolled: 1-line block ×5, first 2 shown]
.LBB0_14:
	s_wait_alu 0xfffe
	s_or_b32 exec_lo, exec_lo, s4
.LBB0_15:
	s_delay_alu instid0(SALU_CYCLE_1)
	s_or_b32 exec_lo, exec_lo, s1
	s_wait_loadcnt 0x0
	v_add_f64_e64 v[88:89], v[82:83], -v[6:7]
	s_mov_b32 s20, 0xbb3a28a1
	s_mov_b32 s21, 0xbfe82f19
	v_add_f64_e64 v[90:91], v[78:79], -v[10:11]
	v_add_f64_e64 v[92:93], v[58:59], -v[18:19]
	;; [unrolled: 1-line block ×3, first 2 shown]
	v_add_f64_e32 v[98:99], v[4:5], v[80:81]
	s_mov_b32 s4, 0x43842ef
	s_mov_b32 s30, 0x7f775887
	s_mov_b32 s12, 0xf8bb580b
	s_mov_b32 s10, 0xfd768dbf
	s_mov_b32 s26, 0x8eee2c13
	s_mov_b32 s5, 0xbfefac9e
	s_mov_b32 s31, 0xbfe4f49e
	s_mov_b32 s15, 0x3fefac9e
	s_mov_b32 s13, 0xbfe14ced
	s_mov_b32 s11, 0xbfd207e7
	s_wait_alu 0xfffe
	s_mov_b32 s14, s4
	s_mov_b32 s27, 0xbfed1bb4
	;; [unrolled: 1-line block ×4, first 2 shown]
	v_add_f64_e64 v[94:95], v[66:67], -v[46:47]
	v_add_f64_e32 v[100:101], v[8:9], v[76:77]
	v_add_f64_e32 v[102:103], v[16:17], v[56:57]
	;; [unrolled: 1-line block ×3, first 2 shown]
	s_mov_b32 s22, 0x640f44db
	s_mov_b32 s24, 0x8764f0ba
	;; [unrolled: 1-line block ×12, first 2 shown]
	v_add_f64_e32 v[108:109], v[44:45], v[64:65]
	v_mul_f64_e32 v[104:105], s[20:21], v[88:89]
	v_mul_f64_e32 v[110:111], s[10:11], v[88:89]
	;; [unrolled: 1-line block ×5, first 2 shown]
	s_wait_alu 0xfffe
	v_mul_f64_e32 v[128:129], s[28:29], v[96:97]
	v_mul_f64_e32 v[137:138], s[26:27], v[88:89]
	;; [unrolled: 1-line block ×15, first 2 shown]
	v_cmp_gt_u32_e64 s1, 40, v134
	v_mul_f64_e32 v[122:123], s[10:11], v[94:95]
	v_mul_f64_e32 v[126:127], s[28:29], v[94:95]
	;; [unrolled: 1-line block ×5, first 2 shown]
	v_fma_f64 v[153:154], v[98:99], s[30:31], v[104:105]
	v_fma_f64 v[104:105], v[98:99], s[30:31], -v[104:105]
	v_fma_f64 v[157:158], v[98:99], s[36:37], v[110:111]
	v_fma_f64 v[155:156], v[100:101], s[22:23], v[106:107]
	v_fma_f64 v[110:111], v[98:99], s[36:37], -v[110:111]
	v_fma_f64 v[161:162], v[102:103], s[24:25], v[114:115]
	v_fma_f64 v[163:164], v[102:103], s[24:25], -v[114:115]
	;; [unrolled: 2-line block ×3, first 2 shown]
	v_fma_f64 v[114:115], v[98:99], s[24:25], v[132:133]
	v_fma_f64 v[128:129], v[98:99], s[38:39], v[137:138]
	;; [unrolled: 1-line block ×3, first 2 shown]
	v_fma_f64 v[137:138], v[98:99], s[38:39], -v[137:138]
	v_fma_f64 v[132:133], v[98:99], s[24:25], -v[132:133]
	;; [unrolled: 1-line block ×4, first 2 shown]
	v_fma_f64 v[159:160], v[100:101], s[24:25], v[112:113]
	v_fma_f64 v[112:113], v[100:101], s[24:25], -v[112:113]
	v_fma_f64 v[177:178], v[124:125], s[22:23], v[130:131]
	v_fma_f64 v[179:180], v[124:125], s[22:23], -v[130:131]
	v_fma_f64 v[130:131], v[100:101], s[30:31], v[139:140]
	v_fma_f64 v[183:184], v[100:101], s[36:37], v[90:91]
	;; [unrolled: 1-line block ×3, first 2 shown]
	v_fma_f64 v[171:172], v[108:109], s[38:39], -v[126:127]
	v_fma_f64 v[126:127], v[100:101], s[38:39], v[135:136]
	v_fma_f64 v[135:136], v[100:101], s[38:39], -v[135:136]
	v_fma_f64 v[139:140], v[100:101], s[30:31], -v[139:140]
	;; [unrolled: 1-line block ×3, first 2 shown]
	v_fma_f64 v[197:198], v[108:109], s[24:25], v[94:95]
	v_fma_f64 v[199:200], v[108:109], s[24:25], -v[94:95]
	v_fma_f64 v[165:166], v[102:103], s[30:31], v[120:121]
	v_fma_f64 v[120:121], v[102:103], s[30:31], -v[120:121]
	;; [unrolled: 2-line block ×3, first 2 shown]
	v_fma_f64 v[185:186], v[102:103], s[22:23], v[141:142]
	v_fma_f64 v[187:188], v[102:103], s[36:37], v[143:144]
	;; [unrolled: 1-line block ×4, first 2 shown]
	v_add_f64_e32 v[88:89], v[12:13], v[153:154]
	v_fma_f64 v[193:194], v[108:109], s[22:23], v[147:148]
	v_add_f64_e32 v[90:91], v[12:13], v[157:158]
	v_fma_f64 v[141:142], v[102:103], s[22:23], -v[141:142]
	v_fma_f64 v[143:144], v[102:103], s[36:37], -v[143:144]
	;; [unrolled: 1-line block ×5, first 2 shown]
	v_fma_f64 v[203:204], v[124:125], s[30:31], v[96:97]
	v_fma_f64 v[205:206], v[124:125], s[30:31], -v[96:97]
	v_add_f64_e32 v[92:93], v[12:13], v[110:111]
	v_add_f64_e32 v[96:97], v[12:13], v[114:115]
	;; [unrolled: 1-line block ×4, first 2 shown]
	v_fma_f64 v[201:202], v[124:125], s[24:25], v[151:152]
	v_fma_f64 v[151:152], v[124:125], s[24:25], -v[151:152]
	v_fma_f64 v[207:208], v[124:125], s[36:37], v[149:150]
	v_fma_f64 v[149:150], v[124:125], s[36:37], -v[149:150]
	v_add_f64_e32 v[124:125], v[12:13], v[137:138]
	v_add_f64_e32 v[98:99], v[12:13], v[98:99]
	;; [unrolled: 1-line block ×8, first 2 shown]
	v_mul_f64_e32 v[92:93], s[36:37], v[114:115]
	v_add_f64_e32 v[126:127], v[12:13], v[132:133]
	v_add_f64_e32 v[124:125], v[139:140], v[124:125]
	;; [unrolled: 1-line block ×6, first 2 shown]
	v_add_f64_e64 v[90:91], v[38:39], -v[22:23]
	v_add_f64_e32 v[88:89], v[12:13], v[128:129]
	v_mul_f64_e32 v[108:109], s[22:23], v[104:105]
	v_add_f64_e32 v[12:13], v[80:81], v[12:13]
	v_add_f64_e64 v[94:95], v[54:55], -v[34:35]
	v_add_f64_e32 v[120:121], v[120:121], v[112:113]
	v_add_f64_e32 v[159:160], v[185:186], v[96:97]
	;; [unrolled: 1-line block ×4, first 2 shown]
	v_mul_f64_e32 v[126:127], s[22:23], v[114:115]
	v_add_f64_e32 v[143:144], v[143:144], v[124:125]
	v_add_f64_e32 v[153:154], v[167:168], v[153:154]
	;; [unrolled: 1-line block ×6, first 2 shown]
	v_add_f64_e64 v[88:89], v[50:51], -v[26:27]
	v_fma_f64 v[110:111], v[90:91], s[4:5], v[108:109]
	v_mul_f64_e32 v[130:131], s[30:31], v[104:105]
	v_add_f64_e32 v[12:13], v[76:77], v[12:13]
	v_add_f64_e32 v[106:107], v[68:69], v[72:73]
	v_add_f64_e64 v[98:99], v[86:87], -v[62:63]
	v_add_f64_e32 v[120:121], v[171:172], v[120:121]
	v_add_f64_e32 v[159:160], v[191:192], v[159:160]
	;; [unrolled: 1-line block ×9, first 2 shown]
	v_fma_f64 v[100:101], v[88:89], s[34:35], v[92:93]
	v_add_f64_e32 v[110:111], v[0:1], v[110:111]
	v_fma_f64 v[132:133], v[88:89], s[14:15], v[126:127]
	v_add_f64_e32 v[12:13], v[56:57], v[12:13]
	v_add_f64_e32 v[128:129], v[60:61], v[84:85]
	;; [unrolled: 1-line block ×11, first 2 shown]
	v_fma_f64 v[110:111], v[90:91], s[20:21], v[130:131]
	v_add_f64_e32 v[12:13], v[64:65], v[12:13]
	v_mul_f64_e32 v[124:125], s[36:37], v[128:129]
	v_add_f64_e32 v[149:150], v[149:150], v[135:136]
	v_mad_u32_u24 v135, 0x58, v134, 0
	v_add_f64_e32 v[161:162], v[201:202], v[161:162]
	v_add_f64_e32 v[110:111], v[0:1], v[110:111]
	;; [unrolled: 1-line block ×3, first 2 shown]
	v_fma_f64 v[167:168], v[98:99], s[10:11], v[124:125]
	s_delay_alu instid0(VALU_DEP_3) | instskip(SKIP_1) | instid1(VALU_DEP_4)
	v_add_f64_e32 v[139:140], v[132:133], v[110:111]
	v_add_f64_e32 v[132:133], v[32:33], v[52:53]
	v_add_f64_e32 v[12:13], v[40:41], v[12:13]
	s_delay_alu instid0(VALU_DEP_2) | instskip(SKIP_1) | instid1(VALU_DEP_3)
	v_mul_f64_e32 v[110:111], s[24:25], v[132:133]
	v_mul_f64_e32 v[102:103], s[38:39], v[132:133]
	v_add_f64_e32 v[165:166], v[44:45], v[12:13]
	v_add_f64_e64 v[12:13], v[74:75], -v[70:71]
	s_delay_alu instid0(VALU_DEP_4) | instskip(NEXT) | instid1(VALU_DEP_4)
	v_fma_f64 v[112:113], v[94:95], s[12:13], v[110:111]
	v_fma_f64 v[96:97], v[94:95], s[28:29], v[102:103]
	s_delay_alu instid0(VALU_DEP_4) | instskip(NEXT) | instid1(VALU_DEP_3)
	v_add_f64_e32 v[157:158], v[16:17], v[165:166]
	v_add_f64_e32 v[139:140], v[112:113], v[139:140]
	v_mul_f64_e32 v[112:113], s[24:25], v[128:129]
	s_delay_alu instid0(VALU_DEP_4)
	v_add_f64_e32 v[141:142], v[96:97], v[100:101]
	v_mul_f64_e32 v[96:97], s[30:31], v[106:107]
	v_mul_f64_e32 v[100:101], s[38:39], v[106:107]
	v_add_f64_e32 v[157:158], v[8:9], v[157:158]
	v_add_f64_e32 v[139:140], v[167:168], v[139:140]
	v_fma_f64 v[165:166], v[98:99], s[12:13], v[112:113]
	v_fma_f64 v[169:170], v[12:13], s[20:21], v[96:97]
	;; [unrolled: 1-line block ×3, first 2 shown]
	v_add_f64_e32 v[151:152], v[4:5], v[157:158]
	v_add_f64_e32 v[157:158], v[205:206], v[163:164]
	;; [unrolled: 1-line block ×4, first 2 shown]
	ds_store_2addr_b64 v135, v[145:146], v[155:156] offset0:4 offset1:5
	ds_store_2addr_b64 v135, v[165:166], v[153:154] offset0:6 offset1:7
	ds_store_2addr_b64 v135, v[151:152], v[159:160] offset1:1
	ds_store_2addr_b64 v135, v[161:162], v[137:138] offset0:2 offset1:3
	ds_store_2addr_b64 v135, v[157:158], v[143:144] offset0:8 offset1:9
	ds_store_b64 v135, v[149:150] offset:80
	v_add_f64_e32 v[122:123], v[169:170], v[141:142]
	v_add_f64_e32 v[120:121], v[147:148], v[139:140]
	s_and_saveexec_b32 s0, s1
	s_cbranch_execz .LBB0_17
; %bb.16:
	v_add_f64_e32 v[136:137], v[36:37], v[0:1]
	v_mul_f64_e32 v[138:139], s[36:37], v[104:105]
	v_mul_f64_e32 v[140:141], s[20:21], v[90:91]
	;; [unrolled: 1-line block ×10, first 2 shown]
	s_mov_b32 s41, 0x3fe82f19
	s_mov_b32 s40, s20
	v_mul_f64_e32 v[156:157], s[12:13], v[94:95]
	v_mul_f64_e32 v[158:159], s[30:31], v[132:133]
	;; [unrolled: 1-line block ×7, first 2 shown]
	v_add_f64_e32 v[136:137], v[48:49], v[136:137]
	v_fma_f64 v[154:155], v[90:91], s[34:35], v[138:139]
	v_add_f64_e64 v[130:131], v[130:131], -v[140:141]
	v_fma_f64 v[140:141], v[90:91], s[26:27], v[142:143]
	v_fma_f64 v[138:139], v[90:91], s[10:11], v[138:139]
	v_add_f64_e64 v[108:109], v[108:109], -v[144:145]
	v_fma_f64 v[142:143], v[90:91], s[28:29], v[142:143]
	v_fma_f64 v[144:145], v[90:91], s[12:13], v[104:105]
	;; [unrolled: 1-line block ×5, first 2 shown]
	v_add_f64_e64 v[126:127], v[126:127], -v[148:149]
	v_add_f64_e64 v[92:93], v[92:93], -v[150:151]
	v_fma_f64 v[148:149], v[88:89], s[40:41], v[152:153]
	v_fma_f64 v[150:151], v[88:89], s[20:21], v[152:153]
	;; [unrolled: 1-line block ×4, first 2 shown]
	v_mul_f64_e32 v[104:105], s[28:29], v[94:95]
	v_fma_f64 v[168:169], v[94:95], s[40:41], v[158:159]
	v_add_f64_e64 v[110:111], v[110:111], -v[156:157]
	v_fma_f64 v[156:157], v[94:95], s[34:35], v[160:161]
	v_fma_f64 v[158:159], v[94:95], s[20:21], v[158:159]
	v_add_f64_e32 v[136:137], v[52:53], v[136:137]
	v_add_f64_e32 v[114:115], v[0:1], v[154:155]
	;; [unrolled: 1-line block ×9, first 2 shown]
	v_mul_f64_e32 v[154:155], s[10:11], v[98:99]
	v_mul_f64_e32 v[90:91], s[12:13], v[98:99]
	v_add_f64_e64 v[102:103], v[102:103], -v[104:105]
	v_fma_f64 v[104:105], v[94:95], s[10:11], v[160:161]
	v_fma_f64 v[160:161], v[94:95], s[14:15], v[132:133]
	v_fma_f64 v[94:95], v[94:95], s[4:5], v[132:133]
	v_add_f64_e32 v[136:137], v[84:85], v[136:137]
	v_add_f64_e32 v[114:115], v[162:163], v[114:115]
	;; [unrolled: 1-line block ×9, first 2 shown]
	v_mul_f64_e32 v[142:143], s[22:23], v[106:107]
	v_mul_f64_e32 v[144:145], s[24:25], v[106:107]
	;; [unrolled: 1-line block ×3, first 2 shown]
	v_fma_f64 v[146:147], v[98:99], s[26:27], v[164:165]
	v_add_f64_e64 v[124:125], v[124:125], -v[154:155]
	v_fma_f64 v[150:151], v[98:99], s[14:15], v[166:167]
	v_fma_f64 v[148:149], v[98:99], s[28:29], v[164:165]
	v_add_f64_e64 v[90:91], v[112:113], -v[90:91]
	v_fma_f64 v[112:113], v[98:99], s[4:5], v[166:167]
	v_fma_f64 v[152:153], v[98:99], s[40:41], v[128:129]
	v_fma_f64 v[98:99], v[98:99], s[20:21], v[128:129]
	v_mul_f64_e32 v[140:141], s[28:29], v[12:13]
	v_mul_f64_e32 v[138:139], s[20:21], v[12:13]
	v_add_f64_e32 v[136:137], v[72:73], v[136:137]
	v_add_f64_e32 v[114:115], v[168:169], v[114:115]
	;; [unrolled: 1-line block ×9, first 2 shown]
	v_fma_f64 v[104:105], v[12:13], s[14:15], v[142:143]
	v_fma_f64 v[108:109], v[12:13], s[4:5], v[142:143]
	;; [unrolled: 1-line block ×4, first 2 shown]
	v_add_f64_e64 v[100:101], v[100:101], -v[140:141]
	v_add_f64_e64 v[96:97], v[96:97], -v[138:139]
	v_add_f64_e32 v[136:137], v[68:69], v[136:137]
	v_add_f64_e32 v[110:111], v[124:125], v[110:111]
	;; [unrolled: 1-line block ×11, first 2 shown]
	v_add_nc_u32_e32 v96, 0x2600, v135
	v_add_nc_u32_e32 v97, 0x2610, v135
	v_add_f64_e32 v[94:95], v[32:33], v[136:137]
	v_fma_f64 v[136:137], v[12:13], s[34:35], v[106:107]
	v_fma_f64 v[12:13], v[12:13], s[10:11], v[106:107]
	v_add_f64_e32 v[106:107], v[146:147], v[114:115]
	v_add_f64_e32 v[114:115], v[148:149], v[128:129]
	;; [unrolled: 1-line block ×8, first 2 shown]
	v_add_nc_u32_e32 v106, 0x25d0, v135
	v_add_f64_e32 v[88:89], v[20:21], v[94:95]
	v_add_nc_u32_e32 v94, 0x25e0, v135
	v_add_nc_u32_e32 v95, 0x25f0, v135
	ds_store_2addr_b64 v94, v[104:105], v[122:123] offset1:1
	ds_store_2addr_b64 v95, v[120:121], v[102:103] offset1:1
	;; [unrolled: 1-line block ×5, first 2 shown]
	ds_store_b64 v135, v[0:1] offset:9760
.LBB0_17:
	s_wait_alu 0xfffe
	s_or_b32 exec_lo, exec_lo, s0
	v_mad_i32_i24 v124, 0xffffffb0, v134, v135
	global_wb scope:SCOPE_SE
	s_wait_dscnt 0x0
	s_wait_kmcnt 0x0
	s_barrier_signal -1
	s_barrier_wait -1
	global_inv scope:SCOPE_SE
	v_add_nc_u32_e32 v0, 0x1400, v124
	v_add_nc_u32_e32 v1, 0x1c00, v124
	;; [unrolled: 1-line block ×5, first 2 shown]
	ds_load_2addr_b64 v[96:99], v0 offset0:20 offset1:185
	v_add_nc_u32_e32 v0, 0xc00, v124
	ds_load_2addr_b64 v[104:107], v124 offset1:110
	ds_load_2addr_b64 v[100:103], v1 offset0:39 offset1:149
	ds_load_2addr_b64 v[108:111], v12 offset0:92 offset1:202
	;; [unrolled: 1-line block ×5, first 2 shown]
	v_cmp_gt_u32_e64 s0, 55, v134
	s_delay_alu instid0(VALU_DEP_1)
	s_and_saveexec_b32 s4, s0
	s_cbranch_execz .LBB0_19
; %bb.18:
	ds_load_b64 v[122:123], v124 offset:6160
	ds_load_b64 v[120:121], v124 offset:12760
.LBB0_19:
	s_wait_alu 0xfffe
	s_or_b32 exec_lo, exec_lo, s4
	v_add_f64_e32 v[0:1], v[82:83], v[14:15]
	v_add_f64_e64 v[4:5], v[80:81], -v[4:5]
	v_add_f64_e64 v[12:13], v[36:37], -v[20:21]
	s_mov_b32 s38, 0xf8bb580b
	s_mov_b32 s36, 0x8eee2c13
	;; [unrolled: 1-line block ×10, first 2 shown]
	v_add_f64_e64 v[8:9], v[76:77], -v[8:9]
	v_add_f64_e32 v[76:77], v[6:7], v[82:83]
	v_add_f64_e32 v[20:21], v[22:23], v[38:39]
	s_mov_b32 s4, 0x8764f0ba
	s_mov_b32 s14, 0xd9c712b6
	;; [unrolled: 1-line block ×12, first 2 shown]
	s_wait_alu 0xfffe
	s_mov_b32 s30, s20
	s_mov_b32 s28, s12
	s_mov_b32 s24, s38
	s_mov_b32 s23, 0xbfeeb42a
	v_add_f64_e64 v[131:132], v[56:57], -v[16:17]
	v_add_f64_e32 v[16:17], v[26:27], v[50:51]
	s_mov_b32 s35, 0x3fed1bb4
	s_mov_b32 s34, s36
	v_add_f64_e32 v[160:161], v[18:19], v[58:59]
	v_add_f64_e64 v[176:177], v[28:29], -v[40:41]
	v_add_f64_e32 v[0:1], v[78:79], v[0:1]
	v_mul_f64_e32 v[82:83], s[36:37], v[4:5]
	v_mul_f64_e32 v[125:126], s[26:27], v[4:5]
	;; [unrolled: 1-line block ×5, first 2 shown]
	v_add_f64_e32 v[78:79], v[10:11], v[78:79]
	v_add_f64_e32 v[28:29], v[62:63], v[86:87]
	global_wb scope:SCOPE_SE
	s_wait_dscnt 0x0
	s_barrier_signal -1
	s_barrier_wait -1
	global_inv scope:SCOPE_SE
	v_mul_f64_e32 v[136:137], s[36:37], v[8:9]
	v_mul_f64_e32 v[138:139], s[26:27], v[8:9]
	s_wait_alu 0xfffe
	v_mul_f64_e32 v[140:141], s[30:31], v[8:9]
	v_mul_f64_e32 v[142:143], s[28:29], v[8:9]
	;; [unrolled: 1-line block ×3, first 2 shown]
	v_add_f64_e32 v[8:9], v[34:35], v[54:55]
	v_mul_f64_e32 v[162:163], s[38:39], v[131:132]
	v_add_f64_e32 v[80:81], v[58:59], v[0:1]
	v_add_f64_e64 v[0:1], v[48:49], -v[24:25]
	v_mul_f64_e32 v[48:49], s[38:39], v[4:5]
	v_mul_f64_e32 v[24:25], s[12:13], v[12:13]
	v_add_f64_e64 v[4:5], v[52:53], -v[32:33]
	v_fma_f64 v[150:151], v[76:77], s[14:15], -v[82:83]
	v_fma_f64 v[82:83], v[76:77], s[14:15], v[82:83]
	v_fma_f64 v[152:153], v[76:77], s[18:19], -v[125:126]
	v_fma_f64 v[125:126], v[76:77], s[18:19], v[125:126]
	;; [unrolled: 2-line block ×3, first 2 shown]
	v_fma_f64 v[156:157], v[76:77], s[10:11], -v[129:130]
	v_fma_f64 v[158:159], v[20:21], s[18:19], -v[36:37]
	v_add_f64_e64 v[58:59], v[64:65], -v[44:45]
	v_add_f64_e64 v[32:33], v[84:85], -v[60:61]
	v_mul_f64_e32 v[60:61], s[12:13], v[131:132]
	v_mul_f64_e32 v[64:65], s[30:31], v[131:132]
	;; [unrolled: 1-line block ×4, first 2 shown]
	v_fma_f64 v[164:165], v[78:79], s[14:15], -v[136:137]
	v_fma_f64 v[136:137], v[78:79], s[14:15], v[136:137]
	v_fma_f64 v[166:167], v[78:79], s[18:19], -v[138:139]
	v_fma_f64 v[138:139], v[78:79], s[18:19], v[138:139]
	;; [unrolled: 2-line block ×6, first 2 shown]
	v_add_f64_e32 v[80:81], v[66:67], v[80:81]
	v_mul_f64_e32 v[52:53], s[30:31], v[0:1]
	v_mul_f64_e32 v[56:57], s[28:29], v[0:1]
	v_fma_f64 v[146:147], v[76:77], s[4:5], -v[48:49]
	v_fma_f64 v[148:149], v[76:77], s[4:5], v[48:49]
	v_fma_f64 v[76:77], v[76:77], s[10:11], v[129:130]
	v_fma_f64 v[129:130], v[20:21], s[10:11], -v[24:25]
	v_mul_f64_e32 v[44:45], s[34:35], v[4:5]
	v_mul_f64_e32 v[48:49], s[38:39], v[4:5]
	v_add_f64_e32 v[82:83], v[14:15], v[82:83]
	v_add_f64_e32 v[152:153], v[14:15], v[152:153]
	;; [unrolled: 1-line block ×9, first 2 shown]
	v_mul_f64_e32 v[178:179], s[38:39], v[58:59]
	v_mul_f64_e32 v[180:181], s[20:21], v[58:59]
	;; [unrolled: 1-line block ×4, first 2 shown]
	v_fma_f64 v[184:185], v[160:161], s[10:11], -v[60:61]
	v_fma_f64 v[60:61], v[160:161], s[10:11], v[60:61]
	v_fma_f64 v[186:187], v[160:161], s[22:23], -v[64:65]
	v_fma_f64 v[64:65], v[160:161], s[22:23], v[64:65]
	;; [unrolled: 2-line block ×4, first 2 shown]
	v_add_f64_e32 v[80:81], v[30:31], v[80:81]
	v_fma_f64 v[144:145], v[16:17], s[22:23], -v[52:53]
	v_fma_f64 v[174:175], v[16:17], s[10:11], -v[56:57]
	v_add_f64_e32 v[146:147], v[14:15], v[146:147]
	v_add_f64_e32 v[148:149], v[14:15], v[148:149]
	;; [unrolled: 1-line block ×4, first 2 shown]
	v_add_f64_e64 v[14:15], v[72:73], -v[68:69]
	v_mul_f64_e32 v[68:69], s[26:27], v[58:59]
	v_mul_f64_e32 v[72:73], s[28:29], v[58:59]
	;; [unrolled: 1-line block ×3, first 2 shown]
	v_fma_f64 v[160:161], v[8:9], s[14:15], -v[44:45]
	v_fma_f64 v[194:195], v[8:9], s[4:5], -v[48:49]
	v_add_f64_e32 v[82:83], v[138:139], v[82:83]
	v_add_f64_e32 v[138:139], v[170:171], v[152:153]
	;; [unrolled: 1-line block ×6, first 2 shown]
	v_mul_f64_e32 v[152:153], s[24:25], v[176:177]
	v_mul_f64_e32 v[154:155], s[26:27], v[176:177]
	;; [unrolled: 1-line block ×3, first 2 shown]
	v_fma_f64 v[168:169], v[66:67], s[4:5], -v[178:179]
	v_fma_f64 v[170:171], v[66:67], s[4:5], v[178:179]
	v_fma_f64 v[172:173], v[66:67], s[22:23], -v[180:181]
	v_fma_f64 v[178:179], v[28:29], s[4:5], -v[40:41]
	v_add_f64_e32 v[80:81], v[42:43], v[80:81]
	v_add_f64_e32 v[146:147], v[164:165], v[146:147]
	;; [unrolled: 1-line block ×9, first 2 shown]
	v_mul_f64_e32 v[150:151], s[20:21], v[176:177]
	v_mul_f64_e32 v[158:159], s[12:13], v[176:177]
	;; [unrolled: 1-line block ×3, first 2 shown]
	v_fma_f64 v[164:165], v[66:67], s[18:19], -v[68:69]
	v_fma_f64 v[68:69], v[66:67], s[18:19], v[68:69]
	v_fma_f64 v[166:167], v[66:67], s[10:11], -v[72:73]
	v_fma_f64 v[72:73], v[66:67], s[10:11], v[72:73]
	v_fma_f64 v[174:175], v[66:67], s[22:23], v[180:181]
	v_fma_f64 v[176:177], v[66:67], s[14:15], -v[182:183]
	v_fma_f64 v[180:181], v[28:29], s[22:23], -v[58:59]
	v_add_f64_e32 v[64:65], v[64:65], v[82:83]
	v_add_f64_e32 v[82:83], v[190:191], v[138:139]
	;; [unrolled: 1-line block ×4, first 2 shown]
	v_fma_f64 v[66:67], v[66:67], s[14:15], v[182:183]
	v_add_f64_e32 v[78:79], v[131:132], v[78:79]
	v_add_f64_e32 v[127:128], v[188:189], v[127:128]
	;; [unrolled: 1-line block ×3, first 2 shown]
	v_mul_f64_e32 v[46:47], s[34:35], v[14:15]
	v_add_f64_e32 v[146:147], v[184:185], v[146:147]
	v_add_f64_e32 v[60:61], v[60:61], v[136:137]
	;; [unrolled: 1-line block ×5, first 2 shown]
	v_fma_f64 v[140:141], v[144:145], s[4:5], -v[152:153]
	v_fma_f64 v[142:143], v[144:145], s[4:5], v[152:153]
	v_fma_f64 v[131:132], v[144:145], s[22:23], v[150:151]
	v_fma_f64 v[148:149], v[144:145], s[18:19], -v[154:155]
	v_fma_f64 v[152:153], v[144:145], s[14:15], -v[156:157]
	v_add_f64_e32 v[64:65], v[72:73], v[64:65]
	v_add_f64_e32 v[72:73], v[172:173], v[82:83]
	;; [unrolled: 1-line block ×8, first 2 shown]
	v_fma_f64 v[129:130], v[144:145], s[22:23], -v[150:151]
	v_fma_f64 v[150:151], v[144:145], s[18:19], v[154:155]
	v_fma_f64 v[154:155], v[144:145], s[14:15], v[156:157]
	v_fma_f64 v[156:157], v[144:145], s[10:11], -v[158:159]
	v_fma_f64 v[144:145], v[144:145], s[10:11], v[158:159]
	v_fma_f64 v[158:159], v[30:31], s[18:19], -v[42:43]
	v_fma_f64 v[160:161], v[30:31], s[14:15], -v[46:47]
	v_add_f64_e32 v[146:147], v[164:165], v[146:147]
	v_add_f64_e32 v[60:61], v[68:69], v[60:61]
	;; [unrolled: 1-line block ×16, first 2 shown]
	v_add_nc_u32_e32 v66, 0x6e, v134
	v_add_f64_e32 v[6:7], v[6:7], v[10:11]
	v_add_f64_e32 v[10:11], v[150:151], v[18:19]
	;; [unrolled: 1-line block ×4, first 2 shown]
	ds_store_2addr_b64 v135, v[72:73], v[125:126] offset0:4 offset1:5
	ds_store_2addr_b64 v135, v[131:132], v[82:83] offset0:6 offset1:7
	;; [unrolled: 1-line block ×3, first 2 shown]
	ds_store_2addr_b64 v135, v[6:7], v[84:85] offset1:1
	ds_store_2addr_b64 v135, v[10:11], v[129:130] offset0:8 offset1:9
	ds_store_b64 v135, v[127:128] offset:80
	s_and_saveexec_b32 s33, s1
	s_cbranch_execz .LBB0_21
; %bb.20:
	v_add_f64_e32 v[6:7], v[38:39], v[2:3]
	v_mul_f64_e32 v[10:11], s[38:39], v[12:13]
	v_mul_f64_e32 v[18:19], s[36:37], v[12:13]
	v_mul_f64_e32 v[38:39], s[18:19], v[20:21]
	v_mul_f64_e32 v[12:13], s[20:21], v[12:13]
	v_mul_f64_e32 v[67:68], s[26:27], v[0:1]
	v_mul_f64_e32 v[72:73], s[22:23], v[16:17]
	v_mul_f64_e32 v[76:77], s[10:11], v[16:17]
	v_mul_f64_e32 v[82:83], s[30:31], v[4:5]
	v_add_f64_e32 v[6:7], v[50:51], v[6:7]
	v_mul_f64_e32 v[50:51], s[10:11], v[20:21]
	v_fma_f64 v[78:79], v[20:21], s[4:5], -v[10:11]
	v_add_f64_e32 v[36:37], v[38:39], v[36:37]
	v_fma_f64 v[38:39], v[20:21], s[22:23], -v[12:13]
	v_fma_f64 v[80:81], v[20:21], s[14:15], -v[18:19]
	v_fma_f64 v[12:13], v[20:21], s[22:23], v[12:13]
	v_fma_f64 v[18:19], v[20:21], s[14:15], v[18:19]
	;; [unrolled: 1-line block ×3, first 2 shown]
	v_mul_f64_e32 v[20:21], s[14:15], v[8:9]
	v_add_f64_e32 v[52:53], v[72:73], v[52:53]
	v_add_f64_e32 v[56:57], v[76:77], v[56:57]
	v_fma_f64 v[127:128], v[8:9], s[22:23], -v[82:83]
	v_fma_f64 v[82:83], v[8:9], s[22:23], v[82:83]
	v_add_f64_e32 v[6:7], v[54:55], v[6:7]
	v_mul_f64_e32 v[54:55], s[36:37], v[0:1]
	v_mul_f64_e32 v[0:1], s[24:25], v[0:1]
	v_add_f64_e32 v[24:25], v[50:51], v[24:25]
	v_mul_f64_e32 v[50:51], s[4:5], v[8:9]
	v_add_f64_e32 v[36:37], v[2:3], v[36:37]
	v_add_f64_e32 v[38:39], v[2:3], v[38:39]
	;; [unrolled: 1-line block ×5, first 2 shown]
	v_mul_f64_e32 v[80:81], s[28:29], v[32:33]
	v_add_f64_e32 v[20:21], v[20:21], v[44:45]
	v_add_f64_e32 v[6:7], v[86:87], v[6:7]
	v_fma_f64 v[84:85], v[16:17], s[14:15], -v[54:55]
	v_fma_f64 v[54:55], v[16:17], s[14:15], v[54:55]
	v_fma_f64 v[86:87], v[16:17], s[18:19], -v[67:68]
	v_fma_f64 v[67:68], v[16:17], s[18:19], v[67:68]
	;; [unrolled: 2-line block ×3, first 2 shown]
	v_add_f64_e32 v[16:17], v[2:3], v[78:79]
	v_add_f64_e32 v[24:25], v[2:3], v[24:25]
	;; [unrolled: 1-line block ×3, first 2 shown]
	v_mul_f64_e32 v[10:11], s[4:5], v[28:29]
	v_mul_f64_e32 v[78:79], s[26:27], v[32:33]
	;; [unrolled: 1-line block ×3, first 2 shown]
	v_add_f64_e32 v[44:45], v[50:51], v[48:49]
	v_add_f64_e32 v[36:37], v[56:57], v[36:37]
	v_mul_f64_e32 v[50:51], s[14:15], v[30:31]
	v_add_f64_e32 v[6:7], v[74:75], v[6:7]
	v_mul_f64_e32 v[74:75], s[12:13], v[4:5]
	v_mul_f64_e32 v[4:5], s[26:27], v[4:5]
	v_add_f64_e32 v[38:39], v[72:73], v[38:39]
	v_add_f64_e32 v[0:1], v[0:1], v[12:13]
	;; [unrolled: 1-line block ×5, first 2 shown]
	v_mul_f64_e32 v[52:53], s[20:21], v[14:15]
	v_mul_f64_e32 v[54:55], s[24:25], v[14:15]
	;; [unrolled: 1-line block ×3, first 2 shown]
	v_fma_f64 v[56:57], v[28:29], s[18:19], -v[78:79]
	v_fma_f64 v[67:68], v[28:29], s[10:11], -v[80:81]
	v_add_f64_e32 v[10:11], v[10:11], v[40:41]
	v_mul_f64_e32 v[24:25], s[18:19], v[30:31]
	v_add_f64_e32 v[6:7], v[70:71], v[6:7]
	v_mul_f64_e32 v[69:70], s[22:23], v[28:29]
	v_fma_f64 v[125:126], v[8:9], s[10:11], -v[74:75]
	v_fma_f64 v[74:75], v[8:9], s[10:11], v[74:75]
	v_fma_f64 v[48:49], v[8:9], s[18:19], -v[4:5]
	v_fma_f64 v[4:5], v[8:9], s[18:19], v[4:5]
	v_add_f64_e32 v[8:9], v[84:85], v[16:17]
	v_add_f64_e32 v[16:17], v[86:87], v[76:77]
	v_fma_f64 v[71:72], v[28:29], s[10:11], v[80:81]
	v_add_f64_e32 v[24:25], v[24:25], v[42:43]
	v_add_f64_e32 v[42:43], v[50:51], v[46:47]
	;; [unrolled: 1-line block ×3, first 2 shown]
	v_fma_f64 v[62:63], v[28:29], s[18:19], v[78:79]
	v_add_f64_e32 v[40:41], v[69:70], v[58:59]
	v_fma_f64 v[58:59], v[28:29], s[14:15], -v[32:33]
	v_fma_f64 v[28:29], v[28:29], s[14:15], v[32:33]
	v_add_f64_e32 v[32:33], v[44:45], v[36:37]
	v_add_f64_e32 v[8:9], v[125:126], v[8:9]
	;; [unrolled: 1-line block ×6, first 2 shown]
	v_fma_f64 v[38:39], v[30:31], s[4:5], v[54:55]
	v_fma_f64 v[44:45], v[30:31], s[10:11], -v[14:15]
	v_fma_f64 v[14:15], v[30:31], s[10:11], v[14:15]
	v_add_f64_e32 v[4:5], v[34:35], v[6:7]
	v_add_f64_e32 v[6:7], v[82:83], v[12:13]
	;; [unrolled: 1-line block ×3, first 2 shown]
	v_fma_f64 v[18:19], v[30:31], s[22:23], -v[52:53]
	v_fma_f64 v[20:21], v[30:31], s[22:23], v[52:53]
	v_fma_f64 v[34:35], v[30:31], s[4:5], -v[54:55]
	v_add_f64_e32 v[8:9], v[56:57], v[8:9]
	v_add_f64_e32 v[30:31], v[40:41], v[32:33]
	;; [unrolled: 1-line block ×15, first 2 shown]
	v_mad_u32_u24 v14, 0x58, v66, 0
	v_add_f64_e32 v[4:5], v[22:23], v[4:5]
	v_add_f64_e32 v[6:7], v[38:39], v[6:7]
	;; [unrolled: 1-line block ×3, first 2 shown]
	ds_store_2addr_b64 v14, v[64:65], v[18:19] offset0:4 offset1:5
	ds_store_2addr_b64 v14, v[0:1], v[16:17] offset0:6 offset1:7
	ds_store_2addr_b64 v14, v[4:5], v[8:9] offset1:1
	ds_store_2addr_b64 v14, v[12:13], v[60:61] offset0:2 offset1:3
	ds_store_2addr_b64 v14, v[10:11], v[6:7] offset0:8 offset1:9
	ds_store_b64 v14, v[2:3] offset:80
.LBB0_21:
	s_or_b32 exec_lo, exec_lo, s33
	v_add_nc_u32_e32 v8, 0x1c00, v124
	v_add_nc_u32_e32 v0, 0x1400, v124
	;; [unrolled: 1-line block ×6, first 2 shown]
	global_wb scope:SCOPE_SE
	s_wait_dscnt 0x0
	s_barrier_signal -1
	s_barrier_wait -1
	global_inv scope:SCOPE_SE
	ds_load_2addr_b64 v[4:7], v124 offset1:110
	ds_load_2addr_b64 v[0:3], v0 offset0:20 offset1:185
	ds_load_2addr_b64 v[16:19], v8 offset0:39 offset1:149
	;; [unrolled: 1-line block ×6, first 2 shown]
	s_and_saveexec_b32 s1, s0
	s_cbranch_execz .LBB0_23
; %bb.22:
	ds_load_b64 v[60:61], v124 offset:6160
	ds_load_b64 v[64:65], v124 offset:12760
.LBB0_23:
	s_wait_alu 0xfffe
	s_or_b32 exec_lo, exec_lo, s1
	v_and_b32_e32 v28, 0xff, v134
	v_and_b32_e32 v67, 0xff, v66
	v_add_nc_u32_e32 v69, 0x1b8, v134
	v_add_nc_u32_e32 v62, 0xdc, v134
	;; [unrolled: 1-line block ×3, first 2 shown]
	v_mul_lo_u16 v28, 0x75, v28
	v_mul_lo_u16 v29, 0x75, v67
	v_and_b32_e32 v33, 0xffff, v69
	v_add_nc_u32_e32 v30, 0x226, v134
	v_add_nc_u32_e32 v31, 0x294, v134
	v_lshrrev_b16 v28, 8, v28
	v_lshrrev_b16 v29, 8, v29
	v_mul_u32_u24_e32 v70, 0xba2f, v33
	v_and_b32_e32 v63, 0xffff, v62
	v_and_b32_e32 v32, 0xffff, v68
	v_sub_nc_u16 v34, v134, v28
	v_sub_nc_u16 v35, v66, v29
	v_and_b32_e32 v36, 0xffff, v30
	v_and_b32_e32 v37, 0xffff, v31
	v_mul_u32_u24_e32 v72, 0xba2f, v63
	v_lshrrev_b16 v34, 1, v34
	v_lshrrev_b16 v35, 1, v35
	v_mul_u32_u24_e32 v71, 0xba2f, v32
	v_mul_u32_u24_e32 v32, 0xba2f, v36
	v_lshrrev_b32_e32 v133, 19, v72
	v_and_b32_e32 v33, 0x7f, v34
	v_and_b32_e32 v34, 0x7f, v35
	v_mul_u32_u24_e32 v35, 0xba2f, v37
	v_lshrrev_b32_e32 v137, 19, v71
	v_lshrrev_b32_e32 v138, 19, v70
	v_add_nc_u16 v28, v33, v28
	v_add_nc_u16 v29, v34, v29
	v_lshrrev_b32_e32 v139, 19, v32
	v_lshrrev_b32_e32 v140, 19, v35
	v_mul_lo_u16 v32, v138, 11
	v_lshrrev_b16 v141, 3, v28
	v_lshrrev_b16 v142, 3, v29
	v_mul_lo_u16 v28, v133, 11
	v_mul_lo_u16 v29, v137, 11
	v_mul_lo_u16 v35, v139, 11
	v_mul_lo_u16 v33, v141, 11
	v_mul_lo_u16 v34, v142, 11
	v_mul_lo_u16 v36, v140, 11
	v_sub_nc_u16 v28, v62, v28
	v_sub_nc_u16 v29, v68, v29
	;; [unrolled: 1-line block ×7, first 2 shown]
	v_and_b32_e32 v143, 0xff, v33
	v_and_b32_e32 v144, 0xff, v34
	;; [unrolled: 1-line block ×5, first 2 shown]
	v_lshlrev_b32_e32 v28, 4, v143
	v_lshlrev_b32_e32 v29, 4, v144
	v_and_b32_e32 v148, 0xffff, v30
	v_and_b32_e32 v149, 0xffff, v31
	v_lshlrev_b32_e32 v30, 4, v147
	s_clause 0x1
	global_load_b128 v[32:35], v28, s[8:9]
	global_load_b128 v[36:39], v29, s[8:9]
	v_lshlrev_b32_e32 v28, 4, v145
	v_lshlrev_b32_e32 v29, 4, v146
	;; [unrolled: 1-line block ×4, first 2 shown]
	s_clause 0x4
	global_load_b128 v[40:43], v28, s[8:9]
	global_load_b128 v[44:47], v29, s[8:9]
	global_load_b128 v[48:51], v30, s[8:9]
	global_load_b128 v[52:55], v31, s[8:9]
	global_load_b128 v[56:59], v56, s[8:9]
	v_add_nc_u32_e32 v28, 0x302, v134
	s_delay_alu instid0(VALU_DEP_1) | instskip(NEXT) | instid1(VALU_DEP_1)
	v_and_b32_e32 v29, 0xffff, v28
	v_mul_u32_u24_e32 v29, 0xba2f, v29
	s_delay_alu instid0(VALU_DEP_1) | instskip(NEXT) | instid1(VALU_DEP_1)
	v_lshrrev_b32_e32 v150, 19, v29
	v_mul_lo_u16 v29, v150, 11
	s_delay_alu instid0(VALU_DEP_1) | instskip(NEXT) | instid1(VALU_DEP_1)
	v_sub_nc_u16 v28, v28, v29
	v_and_b32_e32 v151, 0xffff, v28
	s_delay_alu instid0(VALU_DEP_1)
	v_lshlrev_b32_e32 v28, 4, v151
	global_load_b128 v[28:31], v28, s[8:9]
	global_wb scope:SCOPE_SE
	s_wait_loadcnt_dscnt 0x0
	s_barrier_signal -1
	s_barrier_wait -1
	global_inv scope:SCOPE_SE
	v_mul_f64_e32 v[73:74], v[2:3], v[34:35]
	v_mul_f64_e32 v[75:76], v[16:17], v[38:39]
	;; [unrolled: 1-line block ×7, first 2 shown]
	v_fma_f64 v[73:74], v[98:99], v[32:33], v[73:74]
	v_fma_f64 v[75:76], v[100:101], v[36:37], v[75:76]
	v_fma_f64 v[77:78], v[102:103], v[40:41], v[77:78]
	v_fma_f64 v[79:80], v[92:93], v[44:45], v[79:80]
	v_fma_f64 v[81:82], v[94:95], v[48:49], v[81:82]
	v_fma_f64 v[83:84], v[88:89], v[52:53], v[83:84]
	v_fma_f64 v[85:86], v[90:91], v[56:57], v[85:86]
	v_add_f64_e64 v[125:126], v[104:105], -v[73:74]
	v_add_f64_e64 v[127:128], v[106:107], -v[75:76]
	v_mul_u32_u24_e32 v75, 0xb0, v133
	v_add_f64_e64 v[129:130], v[108:109], -v[77:78]
	v_add_f64_e64 v[131:132], v[110:111], -v[79:80]
	;; [unrolled: 1-line block ×5, first 2 shown]
	v_mul_u32_u24_e32 v76, 0xb0, v137
	v_mul_u32_u24_e32 v77, 0xb0, v138
	v_lshlrev_b32_e32 v80, 3, v145
	v_lshlrev_b32_e32 v81, 3, v146
	v_and_b32_e32 v137, 0xffff, v141
	v_and_b32_e32 v138, 0xffff, v142
	v_mul_u32_u24_e32 v78, 0xb0, v139
	v_mul_u32_u24_e32 v79, 0xb0, v140
	v_lshlrev_b32_e32 v133, 3, v149
	v_add3_u32 v75, 0, v75, v80
	v_add3_u32 v76, 0, v76, v81
	v_mul_u32_u24_e32 v80, 0xb0, v137
	v_mul_u32_u24_e32 v81, 0xb0, v138
	v_lshlrev_b32_e32 v137, 3, v144
	v_mul_lo_u16 v73, v150, 22
	v_lshlrev_b32_e32 v74, 3, v151
	v_add3_u32 v79, 0, v79, v133
	s_delay_alu instid0(VALU_DEP_4)
	v_add3_u32 v81, 0, v81, v137
	v_fma_f64 v[86:87], v[104:105], 2.0, -v[125:126]
	v_fma_f64 v[104:105], v[106:107], 2.0, -v[127:128]
	;; [unrolled: 1-line block ×7, first 2 shown]
	v_lshlrev_b32_e32 v114, 3, v147
	v_lshlrev_b32_e32 v115, 3, v148
	s_delay_alu instid0(VALU_DEP_2) | instskip(SKIP_1) | instid1(VALU_DEP_3)
	v_add3_u32 v77, 0, v77, v114
	v_lshlrev_b32_e32 v114, 3, v143
	v_add3_u32 v78, 0, v78, v115
	s_delay_alu instid0(VALU_DEP_2)
	v_add3_u32 v80, 0, v80, v114
	ds_store_2addr_b64 v80, v[86:87], v[125:126] offset1:11
	ds_store_2addr_b64 v81, v[104:105], v[127:128] offset1:11
	;; [unrolled: 1-line block ×7, first 2 shown]
	s_and_saveexec_b32 s1, s0
	s_cbranch_execz .LBB0_25
; %bb.24:
	v_mul_f64_e32 v[82:83], v[64:65], v[30:31]
	v_and_b32_e32 v86, 0xffff, v73
	s_delay_alu instid0(VALU_DEP_1) | instskip(NEXT) | instid1(VALU_DEP_1)
	v_lshlrev_b32_e32 v86, 3, v86
	v_add3_u32 v86, 0, v74, v86
	s_delay_alu instid0(VALU_DEP_4) | instskip(NEXT) | instid1(VALU_DEP_1)
	v_fma_f64 v[82:83], v[120:121], v[28:29], v[82:83]
	v_add_f64_e64 v[82:83], v[122:123], -v[82:83]
	s_delay_alu instid0(VALU_DEP_1)
	v_fma_f64 v[84:85], v[122:123], 2.0, -v[82:83]
	ds_store_2addr_b64 v86, v[84:85], v[82:83] offset1:11
.LBB0_25:
	s_wait_alu 0xfffe
	s_or_b32 exec_lo, exec_lo, s1
	v_mul_f64_e32 v[34:35], v[98:99], v[34:35]
	v_mul_f64_e32 v[38:39], v[100:101], v[38:39]
	;; [unrolled: 1-line block ×7, first 2 shown]
	global_wb scope:SCOPE_SE
	s_wait_dscnt 0x0
	s_barrier_signal -1
	s_barrier_wait -1
	global_inv scope:SCOPE_SE
	v_fma_f64 v[2:3], v[2:3], v[32:33], -v[34:35]
	v_fma_f64 v[16:17], v[16:17], v[36:37], -v[38:39]
	;; [unrolled: 1-line block ×7, first 2 shown]
	v_add_nc_u32_e32 v34, 0xc00, v124
	v_add_nc_u32_e32 v35, 0x2000, v124
	;; [unrolled: 1-line block ×6, first 2 shown]
	v_add_f64_e64 v[40:41], v[4:5], -v[2:3]
	v_add_f64_e64 v[42:43], v[6:7], -v[16:17]
	;; [unrolled: 1-line block ×7, first 2 shown]
	v_fma_f64 v[54:55], v[4:5], 2.0, -v[40:41]
	v_fma_f64 v[56:57], v[6:7], 2.0, -v[42:43]
	;; [unrolled: 1-line block ×7, first 2 shown]
	ds_load_2addr_b64 v[0:3], v124 offset1:110
	ds_load_b64 v[32:33], v124 offset:12320
	ds_load_2addr_b64 v[4:7], v34 offset0:56 offset1:166
	ds_load_2addr_b64 v[24:27], v35 offset0:76 offset1:186
	;; [unrolled: 1-line block ×6, first 2 shown]
	global_wb scope:SCOPE_SE
	s_wait_dscnt 0x0
	s_barrier_signal -1
	s_barrier_wait -1
	global_inv scope:SCOPE_SE
	ds_store_2addr_b64 v80, v[54:55], v[40:41] offset1:11
	ds_store_2addr_b64 v81, v[56:57], v[42:43] offset1:11
	;; [unrolled: 1-line block ×7, first 2 shown]
	s_and_saveexec_b32 s1, s0
	s_cbranch_execz .LBB0_27
; %bb.26:
	v_mul_f64_e32 v[30:31], v[120:121], v[30:31]
	v_and_b32_e32 v40, 0xffff, v73
	s_delay_alu instid0(VALU_DEP_1) | instskip(NEXT) | instid1(VALU_DEP_1)
	v_lshlrev_b32_e32 v40, 3, v40
	v_add3_u32 v40, 0, v74, v40
	s_delay_alu instid0(VALU_DEP_4) | instskip(NEXT) | instid1(VALU_DEP_1)
	v_fma_f64 v[28:29], v[64:65], v[28:29], -v[30:31]
	v_add_f64_e64 v[28:29], v[60:61], -v[28:29]
	s_delay_alu instid0(VALU_DEP_1)
	v_fma_f64 v[30:31], v[60:61], 2.0, -v[28:29]
	ds_store_2addr_b64 v40, v[30:31], v[28:29] offset1:11
.LBB0_27:
	s_wait_alu 0xfffe
	s_or_b32 exec_lo, exec_lo, s1
	v_lshrrev_b16 v28, 1, v134
	v_lshrrev_b16 v29, 1, v67
	v_lshrrev_b32_e32 v129, 20, v72
	v_lshrrev_b32_e32 v130, 20, v71
	;; [unrolled: 1-line block ×3, first 2 shown]
	v_and_b32_e32 v28, 0x7f, v28
	v_mul_lo_u16 v29, 0xbb, v29
	v_mul_lo_u16 v30, v129, 22
	v_mul_lo_u16 v31, v130, 22
	v_mul_lo_u16 v40, v131, 22
	v_mul_lo_u16 v28, 0xbb, v28
	v_lshrrev_b16 v128, 11, v29
	v_sub_nc_u16 v30, v62, v30
	v_sub_nc_u16 v31, v68, v31
	global_wb scope:SCOPE_SE
	s_wait_dscnt 0x0
	v_lshrrev_b16 v127, 11, v28
	v_mul_lo_u16 v29, v128, 22
	v_and_b32_e32 v135, 0xffff, v30
	v_and_b32_e32 v136, 0xffff, v31
	s_barrier_signal -1
	v_mul_lo_u16 v28, v127, 22
	v_sub_nc_u16 v29, v66, v29
	v_lshlrev_b32_e32 v56, 5, v135
	v_lshlrev_b32_e32 v60, 5, v136
	s_barrier_wait -1
	v_sub_nc_u16 v28, v134, v28
	v_and_b32_e32 v133, 0xff, v29
	global_inv scope:SCOPE_SE
	v_cmp_gt_u32_e64 s0, 0x42, v134
	s_mov_b32 s4, 0xe8584caa
	v_and_b32_e32 v132, 0xff, v28
	v_sub_nc_u16 v28, v69, v40
	v_lshlrev_b32_e32 v48, 5, v133
	s_mov_b32 s5, 0xbfebb67a
	s_mov_b32 s11, 0x3febb67a
	v_lshlrev_b32_e32 v40, 5, v132
	v_and_b32_e32 v137, 0xffff, v28
	s_wait_alu 0xfffe
	s_mov_b32 s10, s4
	s_mov_b32 s19, 0x3fee6f0e
	;; [unrolled: 1-line block ×3, first 2 shown]
	s_clause 0x3
	global_load_b128 v[28:31], v40, s[8:9] offset:192
	global_load_b128 v[40:43], v40, s[8:9] offset:176
	;; [unrolled: 1-line block ×4, first 2 shown]
	v_lshlrev_b32_e32 v61, 5, v137
	s_clause 0x5
	global_load_b128 v[52:55], v56, s[8:9] offset:176
	global_load_b128 v[56:59], v56, s[8:9] offset:192
	;; [unrolled: 1-line block ×6, first 2 shown]
	ds_load_2addr_b64 v[84:87], v34 offset0:56 offset1:166
	ds_load_2addr_b64 v[88:91], v35 offset0:76 offset1:186
	;; [unrolled: 1-line block ×5, first 2 shown]
	ds_load_b64 v[60:61], v124 offset:12320
	s_mov_b32 s12, 0x372fe950
	s_mov_b32 s13, 0x3fd3c6ef
	s_wait_loadcnt_dscnt 0x503
	v_mul_f64_e32 v[110:111], v[94:95], v[54:55]
	v_mul_f64_e32 v[64:65], v[86:87], v[42:43]
	;; [unrolled: 1-line block ×5, first 2 shown]
	s_wait_loadcnt_dscnt 0x402
	v_mul_f64_e32 v[112:113], v[96:97], v[58:59]
	s_wait_loadcnt_dscnt 0x301
	v_mul_f64_e32 v[114:115], v[100:101], v[70:71]
	s_wait_loadcnt 0x2
	v_mul_f64_e32 v[120:121], v[98:99], v[74:75]
	s_wait_loadcnt 0x1
	v_mul_f64_e32 v[122:123], v[102:103], v[78:79]
	s_wait_loadcnt_dscnt 0x0
	v_mul_f64_e32 v[125:126], v[60:61], v[82:83]
	v_mul_f64_e32 v[42:43], v[6:7], v[42:43]
	;; [unrolled: 1-line block ×11, first 2 shown]
	v_fma_f64 v[64:65], v[6:7], v[40:41], v[64:65]
	v_fma_f64 v[24:25], v[24:25], v[28:29], v[104:105]
	;; [unrolled: 1-line block ×10, first 2 shown]
	v_fma_f64 v[40:41], v[86:87], v[40:41], -v[42:43]
	v_fma_f64 v[30:31], v[88:89], v[28:29], -v[30:31]
	v_mov_b32_e32 v29, 0
	v_fma_f64 v[42:43], v[92:93], v[48:49], -v[50:51]
	v_fma_f64 v[44:45], v[90:91], v[44:45], -v[46:47]
	;; [unrolled: 1-line block ×8, first 2 shown]
	v_add_nc_u32_e32 v6, 0xffffffbe, v134
	ds_load_2addr_b64 v[13:16], v124 offset1:110
	ds_load_2addr_b64 v[17:20], v38 offset0:92 offset1:202
	v_mul_u32_u24_e32 v23, 0xf83f, v63
	v_mul_lo_u16 v12, 0xf9, v67
	v_cndmask_b32_e64 v7, v6, v134, s0
	v_and_b32_e32 v67, 0xffff, v128
	v_and_b32_e32 v115, 0xffff, v127
	v_lshrrev_b32_e32 v6, 22, v23
	v_lshrrev_b16 v12, 14, v12
	v_lshlrev_b32_e32 v28, 2, v7
	v_mul_u32_u24_e32 v120, 0x210, v67
	v_mul_u32_u24_e32 v102, 0x210, v129
	v_mul_lo_u16 v63, 0x42, v6
	v_mul_lo_u16 v23, 0x42, v12
	v_lshlrev_b64_e32 v[74:75], 4, v[28:29]
	v_lshlrev_b32_e32 v121, 3, v135
	v_add_f64_e32 v[96:97], v[0:1], v[64:65]
	v_add_f64_e32 v[58:59], v[64:65], v[24:25]
	v_sub_nc_u16 v28, v62, v63
	v_add_f64_e32 v[60:61], v[104:105], v[26:27]
	v_add_f64_e32 v[80:81], v[8:9], v[21:22]
	;; [unrolled: 1-line block ×9, first 2 shown]
	v_add_f64_e64 v[98:99], v[40:41], -v[30:31]
	s_wait_dscnt 0x1
	v_add_f64_e32 v[40:41], v[13:14], v[40:41]
	v_add_f64_e32 v[78:79], v[42:43], v[44:45]
	v_add_f64_e64 v[100:101], v[42:43], -v[44:45]
	v_add_f64_e32 v[82:83], v[46:47], v[48:49]
	v_add_f64_e32 v[42:43], v[15:16], v[42:43]
	;; [unrolled: 1-line block ×3, first 2 shown]
	v_add_f64_e64 v[63:64], v[64:65], -v[24:25]
	v_add_f64_e32 v[92:93], v[54:55], v[56:57]
	v_add_f64_e64 v[21:22], v[21:22], -v[106:107]
	v_sub_nc_u16 v23, v66, v23
	v_mul_u32_u24_e32 v103, 0x210, v130
	v_mul_u32_u24_e32 v114, 0x210, v131
	v_lshlrev_b32_e32 v122, 3, v136
	v_lshlrev_b32_e32 v123, 3, v137
	v_add3_u32 v65, 0, v102, v121
	global_wb scope:SCOPE_SE
	s_wait_dscnt 0x0
	s_barrier_signal -1
	s_barrier_wait -1
	global_inv scope:SCOPE_SE
	v_lshlrev_b32_e32 v7, 3, v7
	v_mul_u32_u24_e32 v6, 0xa50, v6
	v_fma_f64 v[58:59], v[58:59], -0.5, v[0:1]
	v_and_b32_e32 v0, 0xff, v23
	v_fma_f64 v[2:3], v[60:61], -0.5, v[2:3]
	v_add_f64_e64 v[60:61], v[46:47], -v[48:49]
	v_fma_f64 v[8:9], v[68:69], -0.5, v[8:9]
	v_add_f64_e64 v[67:68], v[50:51], -v[52:53]
	;; [unrolled: 2-line block ×3, first 2 shown]
	v_fma_f64 v[4:5], v[72:73], -0.5, v[4:5]
	v_add_co_u32 v71, s0, s8, v74
	v_fma_f64 v[13:14], v[76:77], -0.5, v[13:14]
	v_add_f64_e32 v[46:47], v[17:18], v[46:47]
	v_add_f64_e32 v[50:51], v[19:20], v[50:51]
	s_wait_alu 0xf1ff
	v_add_co_ci_u32_e64 v72, s0, s9, v75, s0
	v_add_f64_e32 v[54:55], v[84:85], v[54:55]
	v_add_f64_e64 v[75:76], v[104:105], -v[26:27]
	v_fma_f64 v[15:16], v[78:79], -0.5, v[15:16]
	v_fma_f64 v[17:18], v[82:83], -0.5, v[17:18]
	v_add_f64_e64 v[73:74], v[108:109], -v[110:111]
	v_fma_f64 v[19:20], v[88:89], -0.5, v[19:20]
	v_add_f64_e64 v[77:78], v[112:113], -v[32:33]
	v_fma_f64 v[83:84], v[92:93], -0.5, v[84:85]
	v_add_f64_e32 v[79:80], v[80:81], v[106:107]
	v_add_f64_e32 v[81:82], v[86:87], v[110:111]
	;; [unrolled: 1-line block ×4, first 2 shown]
	v_mul_u32_u24_e32 v25, 0x210, v115
	v_add_f64_e32 v[42:43], v[42:43], v[44:45]
	v_add_f64_e32 v[40:41], v[40:41], v[30:31]
	;; [unrolled: 1-line block ×3, first 2 shown]
	v_and_b32_e32 v1, 0xffff, v28
	v_lshlrev_b32_e32 v28, 3, v133
	v_add3_u32 v93, 0, v103, v122
	v_add3_u32 v94, 0, v114, v123
	v_lshlrev_b32_e32 v95, 6, v0
	v_and_b32_e32 v115, 0xffff, v12
	v_fma_f64 v[85:86], v[98:99], s[4:5], v[58:59]
	s_wait_alu 0xfffe
	v_fma_f64 v[58:59], v[98:99], s[10:11], v[58:59]
	v_fma_f64 v[87:88], v[100:101], s[4:5], v[2:3]
	;; [unrolled: 1-line block ×9, first 2 shown]
	v_lshlrev_b32_e32 v69, 3, v132
	v_fma_f64 v[44:45], v[63:64], s[10:11], v[13:14]
	v_add_f64_e32 v[46:47], v[46:47], v[48:49]
	v_add_f64_e32 v[48:49], v[50:51], v[52:53]
	v_fma_f64 v[52:53], v[63:64], s[4:5], v[13:14]
	v_add3_u32 v97, 0, v25, v69
	v_add_f64_e32 v[50:51], v[54:55], v[56:57]
	v_add3_u32 v96, 0, v120, v28
	v_fma_f64 v[54:55], v[75:76], s[10:11], v[15:16]
	v_fma_f64 v[56:57], v[75:76], s[4:5], v[15:16]
	;; [unrolled: 1-line block ×8, first 2 shown]
	s_mov_b32 s4, 0x134454ff
	s_mov_b32 s5, 0xbfee6f0e
	s_wait_alu 0xfffe
	s_mov_b32 s18, s4
	s_mov_b32 s10, 0x4755a5e
	;; [unrolled: 1-line block ×3, first 2 shown]
	s_wait_alu 0xfffe
	s_mov_b32 s14, s10
	v_cmp_lt_u32_e64 s0, 0x41, v134
	v_lshlrev_b32_e32 v0, 3, v0
	ds_store_2addr_b64 v97, v[23:24], v[85:86] offset1:22
	ds_store_b64 v97, v[58:59] offset:352
	ds_store_2addr_b64 v96, v[26:27], v[87:88] offset1:22
	ds_store_b64 v96, v[2:3] offset:352
	;; [unrolled: 2-line block ×5, first 2 shown]
	global_wb scope:SCOPE_SE
	s_wait_dscnt 0x0
	s_barrier_signal -1
	s_barrier_wait -1
	global_inv scope:SCOPE_SE
	ds_load_2addr_b64 v[2:5], v124 offset1:110
	ds_load_2addr_b64 v[8:11], v38 offset0:92 offset1:202
	ds_load_2addr_b64 v[13:16], v36 offset0:20 offset1:130
	ds_load_2addr_b64 v[17:20], v39 offset0:112 offset1:222
	ds_load_2addr_b64 v[21:24], v37 offset0:40 offset1:150
	ds_load_2addr_b64 v[25:28], v34 offset0:56 offset1:166
	ds_load_2addr_b64 v[30:33], v35 offset0:76 offset1:186
	ds_load_b64 v[60:61], v124 offset:12320
	global_wb scope:SCOPE_SE
	s_wait_dscnt 0x0
	s_barrier_signal -1
	s_barrier_wait -1
	global_inv scope:SCOPE_SE
	ds_store_2addr_b64 v97, v[40:41], v[44:45] offset1:22
	ds_store_b64 v97, v[52:53] offset:352
	ds_store_2addr_b64 v96, v[42:43], v[54:55] offset1:22
	ds_store_b64 v96, v[56:57] offset:352
	;; [unrolled: 2-line block ×5, first 2 shown]
	global_wb scope:SCOPE_SE
	s_wait_dscnt 0x0
	s_barrier_signal -1
	s_barrier_wait -1
	global_inv scope:SCOPE_SE
	s_clause 0x3
	global_load_b128 v[40:43], v[71:72], off offset:896
	global_load_b128 v[44:47], v[71:72], off offset:880
	;; [unrolled: 1-line block ×4, first 2 shown]
	v_lshlrev_b32_e32 v63, 6, v1
	s_clause 0x7
	global_load_b128 v[56:59], v95, s[8:9] offset:896
	global_load_b128 v[67:70], v95, s[8:9] offset:912
	;; [unrolled: 1-line block ×8, first 2 shown]
	ds_load_2addr_b64 v[95:98], v38 offset0:92 offset1:202
	ds_load_2addr_b64 v[99:102], v36 offset0:20 offset1:130
	;; [unrolled: 1-line block ×6, first 2 shown]
	ds_load_b64 v[63:64], v124 offset:12320
	s_wait_alu 0xf1ff
	v_cndmask_b32_e64 v65, 0, 0xa50, s0
	v_lshlrev_b32_e32 v1, 3, v1
	s_delay_alu instid0(VALU_DEP_2)
	v_add3_u32 v65, 0, v65, v7
	s_wait_loadcnt_dscnt 0x705
	v_mul_f64_e32 v[135:136], v[101:102], v[58:59]
	s_wait_loadcnt_dscnt 0x602
	v_mul_f64_e32 v[137:138], v[111:112], v[69:70]
	v_mul_f64_e32 v[127:128], v[99:100], v[42:43]
	;; [unrolled: 1-line block ×5, first 2 shown]
	s_wait_loadcnt_dscnt 0x501
	v_mul_f64_e32 v[139:140], v[120:121], v[73:74]
	s_wait_loadcnt 0x4
	v_mul_f64_e32 v[141:142], v[109:110], v[77:78]
	s_wait_loadcnt 0x3
	;; [unrolled: 2-line block ×4, first 2 shown]
	v_mul_f64_e32 v[147:148], v[122:123], v[89:90]
	s_wait_loadcnt_dscnt 0x0
	v_mul_f64_e32 v[149:150], v[63:64], v[93:94]
	v_mul_f64_e32 v[46:47], v[10:11], v[46:47]
	;; [unrolled: 1-line block ×13, first 2 shown]
	v_fma_f64 v[30:31], v[30:31], v[67:68], v[137:138]
	v_fma_f64 v[10:11], v[10:11], v[44:45], v[125:126]
	;; [unrolled: 1-line block ×12, first 2 shown]
	v_fma_f64 v[44:45], v[97:98], v[44:45], -v[46:47]
	v_fma_f64 v[40:41], v[99:100], v[40:41], -v[42:43]
	;; [unrolled: 1-line block ×12, first 2 shown]
	ds_load_2addr_b64 v[13:16], v124 offset1:110
	global_wb scope:SCOPE_SE
	s_wait_dscnt 0x0
	s_barrier_signal -1
	s_barrier_wait -1
	global_inv scope:SCOPE_SE
	v_add_f64_e32 v[81:82], v[2:3], v[10:11]
	v_add_f64_e64 v[87:88], v[10:11], -v[125:126]
	v_add_f64_e32 v[69:70], v[125:126], v[19:20]
	v_add_f64_e32 v[71:72], v[10:11], v[21:22]
	;; [unrolled: 1-line block ×5, first 2 shown]
	v_add_f64_e64 v[91:92], v[125:126], -v[10:11]
	v_add_f64_e32 v[77:78], v[17:18], v[32:33]
	v_add_f64_e32 v[120:121], v[8:9], v[27:28]
	;; [unrolled: 1-line block ×4, first 2 shown]
	v_add_f64_e64 v[10:11], v[10:11], -v[21:22]
	v_add_f64_e32 v[99:100], v[40:41], v[46:47]
	v_add_f64_e32 v[103:104], v[44:45], v[42:43]
	v_add_f64_e64 v[83:84], v[44:45], -v[42:43]
	v_add_f64_e32 v[109:110], v[48:49], v[50:51]
	v_add_f64_e64 v[85:86], v[40:41], -v[46:47]
	;; [unrolled: 2-line block ×5, first 2 shown]
	v_add_f64_e32 v[145:146], v[15:16], v[52:53]
	v_add_f64_e32 v[161:162], v[95:96], v[56:57]
	v_add_f64_e64 v[101:102], v[125:126], -v[19:20]
	v_add_f64_e64 v[139:140], v[23:24], -v[30:31]
	;; [unrolled: 1-line block ×12, first 2 shown]
	v_add_f64_e32 v[81:82], v[81:82], v[125:126]
	v_add_f64_e64 v[111:112], v[42:43], -v[46:47]
	v_fma_f64 v[69:70], v[69:70], -0.5, v[2:3]
	v_fma_f64 v[2:3], v[71:72], -0.5, v[2:3]
	;; [unrolled: 1-line block ×3, first 2 shown]
	v_add_f64_e64 v[71:72], v[25:26], -v[127:128]
	v_fma_f64 v[4:5], v[75:76], -0.5, v[4:5]
	v_add_f64_e64 v[75:76], v[56:57], -v[63:64]
	v_fma_f64 v[77:78], v[77:78], -0.5, v[8:9]
	v_add_f64_e32 v[107:108], v[107:108], v[127:128]
	v_fma_f64 v[8:9], v[79:80], -0.5, v[8:9]
	v_add_f64_e64 v[79:80], v[127:128], -v[25:26]
	v_add_f64_e64 v[25:26], v[25:26], -v[23:24]
	v_fma_f64 v[99:100], v[99:100], -0.5, v[13:14]
	v_fma_f64 v[13:14], v[103:104], -0.5, v[13:14]
	v_add_f64_e64 v[44:45], v[40:41], -v[44:45]
	v_fma_f64 v[109:110], v[109:110], -0.5, v[15:16]
	v_add_f64_e64 v[149:150], v[52:53], -v[48:49]
	;; [unrolled: 2-line block ×3, first 2 shown]
	v_add_f64_e32 v[17:18], v[120:121], v[17:18]
	v_fma_f64 v[120:121], v[122:123], -0.5, v[95:96]
	v_fma_f64 v[95:96], v[131:132], -0.5, v[95:96]
	v_add_f64_e64 v[52:53], v[48:49], -v[52:53]
	v_add_f64_e64 v[122:123], v[56:57], -v[58:59]
	;; [unrolled: 1-line block ×3, first 2 shown]
	v_add_f64_e32 v[40:41], v[97:98], v[40:41]
	v_add_f64_e32 v[48:49], v[145:146], v[48:49]
	;; [unrolled: 1-line block ×3, first 2 shown]
	v_add_f64_e64 v[129:130], v[46:47], -v[42:43]
	v_add_f64_e64 v[151:152], v[54:55], -v[50:51]
	v_add_f64_e64 v[103:104], v[50:51], -v[54:55]
	v_add_f64_e64 v[125:126], v[63:64], -v[67:68]
	v_add_f64_e64 v[171:172], v[67:68], -v[63:64]
	v_add_f64_e32 v[87:88], v[87:88], v[89:90]
	v_add_f64_e32 v[89:90], v[91:92], v[93:94]
	;; [unrolled: 1-line block ×5, first 2 shown]
	v_fma_f64 v[127:128], v[83:84], s[4:5], v[69:70]
	v_fma_f64 v[69:70], v[83:84], s[18:19], v[69:70]
	;; [unrolled: 1-line block ×16, first 2 shown]
	v_add_f64_e32 v[30:31], v[107:108], v[30:31]
	v_fma_f64 v[107:108], v[25:26], s[18:19], v[109:110]
	v_add_f64_e32 v[71:72], v[71:72], v[139:140]
	v_fma_f64 v[139:140], v[147:148], s[4:5], v[15:16]
	v_fma_f64 v[15:16], v[147:148], s[18:19], v[15:16]
	;; [unrolled: 1-line block ×3, first 2 shown]
	v_add_f64_e32 v[17:18], v[17:18], v[32:33]
	v_fma_f64 v[32:33], v[27:28], s[18:19], v[120:121]
	v_add_f64_e32 v[79:80], v[79:80], v[143:144]
	v_fma_f64 v[143:144], v[113:114], s[4:5], v[95:96]
	v_fma_f64 v[95:96], v[113:114], s[18:19], v[95:96]
	;; [unrolled: 1-line block ×3, first 2 shown]
	v_add_f64_e32 v[40:41], v[40:41], v[46:47]
	v_add_f64_e32 v[46:47], v[48:49], v[50:51]
	;; [unrolled: 1-line block ×8, first 2 shown]
	v_fma_f64 v[127:128], v[85:86], s[10:11], v[127:128]
	s_wait_alu 0xfffe
	v_fma_f64 v[69:70], v[85:86], s[14:15], v[69:70]
	v_fma_f64 v[85:86], v[83:84], s[10:11], v[131:132]
	;; [unrolled: 1-line block ×11, first 2 shown]
	v_add_f64_e32 v[75:76], v[105:106], v[111:112]
	v_fma_f64 v[21:22], v[101:102], s[14:15], v[81:82]
	v_fma_f64 v[58:59], v[10:11], s[14:15], v[99:100]
	;; [unrolled: 1-line block ×4, first 2 shown]
	v_add_f64_e32 v[105:106], v[149:150], v[151:152]
	v_add_f64_e32 v[12:13], v[30:31], v[23:24]
	v_fma_f64 v[23:24], v[147:148], s[14:15], v[107:108]
	v_fma_f64 v[67:68], v[25:26], s[14:15], v[139:140]
	;; [unrolled: 1-line block ×5, first 2 shown]
	v_add_f64_e32 v[16:17], v[17:18], v[60:61]
	v_fma_f64 v[60:61], v[27:28], s[14:15], v[143:144]
	v_fma_f64 v[27:28], v[27:28], s[10:11], v[95:96]
	;; [unrolled: 1-line block ×3, first 2 shown]
	v_add_f64_e32 v[40:41], v[40:41], v[42:43]
	v_add_f64_e32 v[42:43], v[46:47], v[54:55]
	v_add_f64_e32 v[46:47], v[48:49], v[63:64]
	v_mul_u32_u24_e32 v18, 0xa50, v115
	v_fma_f64 v[81:82], v[87:88], s[12:13], v[127:128]
	v_fma_f64 v[69:70], v[87:88], s[12:13], v[69:70]
	;; [unrolled: 1-line block ×12, first 2 shown]
	v_add3_u32 v89, 0, v18, v0
	v_fma_f64 v[48:49], v[75:76], s[12:13], v[21:22]
	v_fma_f64 v[54:55], v[44:45], s[12:13], v[58:59]
	;; [unrolled: 1-line block ×4, first 2 shown]
	v_add3_u32 v90, 0, v6, v1
	ds_store_2addr_b64 v65, v[19:20], v[81:82] offset1:66
	ds_store_2addr_b64 v65, v[85:86], v[2:3] offset0:132 offset1:198
	ds_store_b64 v65, v[69:70] offset:2112
	ds_store_2addr_b64 v89, v[12:13], v[83:84] offset1:66
	ds_store_2addr_b64 v89, v[73:74], v[4:5] offset0:132 offset1:198
	ds_store_b64 v89, v[71:72] offset:2112
	;; [unrolled: 3-line block ×3, first 2 shown]
	v_fma_f64 v[58:59], v[105:106], s[12:13], v[23:24]
	v_fma_f64 v[63:64], v[52:53], s[12:13], v[67:68]
	;; [unrolled: 1-line block ×8, first 2 shown]
	global_wb scope:SCOPE_SE
	s_wait_dscnt 0x0
	s_barrier_signal -1
	s_barrier_wait -1
	global_inv scope:SCOPE_SE
	ds_load_2addr_b64 v[4:7], v124 offset1:110
	ds_load_2addr_b64 v[0:3], v38 offset0:92 offset1:202
	ds_load_2addr_b64 v[12:15], v36 offset0:20 offset1:130
	;; [unrolled: 1-line block ×6, first 2 shown]
	ds_load_b64 v[80:81], v124 offset:12320
	global_wb scope:SCOPE_SE
	s_wait_dscnt 0x0
	s_barrier_signal -1
	s_barrier_wait -1
	global_inv scope:SCOPE_SE
	ds_store_2addr_b64 v65, v[40:41], v[48:49] offset1:66
	ds_store_2addr_b64 v65, v[54:55], v[44:45] offset0:132 offset1:198
	ds_store_b64 v65, v[50:51] offset:2112
	ds_store_2addr_b64 v89, v[42:43], v[58:59] offset1:66
	ds_store_2addr_b64 v89, v[63:64], v[52:53] offset0:132 offset1:198
	ds_store_b64 v89, v[30:31] offset:2112
	ds_store_2addr_b64 v90, v[46:47], v[67:68] offset1:66
	ds_store_2addr_b64 v90, v[60:61], v[56:57] offset0:132 offset1:198
	ds_store_b64 v90, v[32:33] offset:2112
	global_wb scope:SCOPE_SE
	s_wait_dscnt 0x0
	s_barrier_signal -1
	s_barrier_wait -1
	global_inv scope:SCOPE_SE
	s_and_saveexec_b32 s0, vcc_lo
	s_cbranch_execz .LBB0_29
; %bb.28:
	v_mul_hi_u32 v91, 0x634c0635, v134
	v_add_nc_u32_e32 v112, 0x6e, v134
	v_lshlrev_b64_e32 v[108:109], 4, v[116:117]
	v_mul_lo_u32 v98, s3, v118
	v_mad_co_u64_u32 v[102:103], null, s2, v118, 0
	s_delay_alu instid0(VALU_DEP_4) | instskip(SKIP_3) | instid1(VALU_DEP_2)
	v_mul_hi_u32 v105, 0x634c0635, v112
	v_mul_lo_u32 v99, s2, v119
	v_lshrrev_b32_e32 v111, 7, v91
	v_add_nc_u32_e32 v94, 0x400, v124
	v_mul_u32_u24_e32 v114, 0x14a, v111
	v_lshrrev_b32_e32 v116, 7, v105
	v_add3_u32 v103, v103, v99, v98
	s_delay_alu instid0(VALU_DEP_3) | instskip(NEXT) | instid1(VALU_DEP_3)
	v_sub_nc_u32_e32 v122, v134, v114
	v_mul_u32_u24_e32 v114, 0x14a, v116
	s_delay_alu instid0(VALU_DEP_2) | instskip(NEXT) | instid1(VALU_DEP_2)
	v_add_nc_u32_e32 v142, 0x3de, v122
	v_sub_nc_u32_e32 v120, v112, v114
	s_delay_alu instid0(VALU_DEP_1) | instskip(NEXT) | instid1(VALU_DEP_1)
	v_mad_u32_u24 v144, 0x672, v116, v120
	v_add_nc_u32_e32 v147, 0x294, v144
	v_add_nc_u32_e32 v148, 0x3de, v144
	;; [unrolled: 1-line block ×3, first 2 shown]
	s_delay_alu instid0(VALU_DEP_3) | instskip(SKIP_1) | instid1(VALU_DEP_4)
	v_mad_co_u64_u32 v[125:126], null, s16, v147, 0
	v_add_nc_u32_e32 v113, 0xdc, v134
	v_mad_co_u64_u32 v[127:128], null, s16, v148, 0
	v_add_nc_u32_e32 v139, 0x14a, v122
	s_delay_alu instid0(VALU_DEP_3) | instskip(NEXT) | instid1(VALU_DEP_1)
	v_mul_hi_u32 v110, 0x634c0635, v113
	v_lshrrev_b32_e32 v118, 7, v110
	v_lshlrev_b64_e32 v[110:111], 4, v[102:103]
	s_delay_alu instid0(VALU_DEP_2) | instskip(NEXT) | instid1(VALU_DEP_1)
	v_mul_u32_u24_e32 v115, 0x14a, v118
	v_sub_nc_u32_e32 v121, v113, v115
	v_mad_co_u64_u32 v[114:115], null, s16, v142, 0
	s_delay_alu instid0(VALU_DEP_2) | instskip(NEXT) | instid1(VALU_DEP_1)
	v_mad_u32_u24 v145, 0x672, v118, v121
	v_add_nc_u32_e32 v152, 0x3de, v145
	v_add_nc_u32_e32 v150, 0x14a, v145
	v_mad_co_u64_u32 v[120:121], null, s16, v145, 0
	v_add_nc_u32_e32 v86, 0xc00, v124
	s_delay_alu instid0(VALU_DEP_4) | instskip(SKIP_4) | instid1(VALU_DEP_4)
	v_mad_co_u64_u32 v[135:136], null, s16, v152, 0
	v_add_nc_u32_e32 v149, 0x528, v144
	v_mad_co_u64_u32 v[131:132], null, s16, v150, 0
	v_add_nc_u32_e32 v143, 0x528, v122
	v_add_nc_u32_e32 v153, 0x528, v145
	v_mad_co_u64_u32 v[129:130], null, s16, v149, 0
	v_add_nc_u32_e32 v141, 0x294, v122
	s_delay_alu instid0(VALU_DEP_3) | instskip(SKIP_1) | instid1(VALU_DEP_3)
	v_mad_co_u64_u32 v[137:138], null, s16, v153, 0
	v_add_nc_u32_e32 v151, 0x294, v145
	v_mad_co_u64_u32 v[112:113], null, s16, v141, 0
	v_lshlrev_b32_e32 v28, 2, v62
	s_delay_alu instid0(VALU_DEP_1) | instskip(SKIP_1) | instid1(VALU_DEP_1)
	v_lshlrev_b64_e32 v[30:31], 4, v[28:29]
	v_lshlrev_b32_e32 v28, 2, v66
	v_lshlrev_b64_e32 v[32:33], 4, v[28:29]
	v_lshlrev_b32_e32 v28, 2, v134
	s_delay_alu instid0(VALU_DEP_4) | instskip(SKIP_2) | instid1(VALU_DEP_3)
	v_add_co_u32 v30, vcc_lo, s8, v30
	s_wait_alu 0xfffd
	v_add_co_ci_u32_e32 v31, vcc_lo, s9, v31, vcc_lo
	v_lshlrev_b64_e32 v[28:29], 4, v[28:29]
	s_clause 0x3
	global_load_b128 v[48:51], v[30:31], off offset:5152
	global_load_b128 v[52:55], v[30:31], off offset:5136
	;; [unrolled: 1-line block ×4, first 2 shown]
	v_add_co_u32 v30, vcc_lo, s8, v32
	s_wait_alu 0xfffd
	v_add_co_ci_u32_e32 v31, vcc_lo, s9, v33, vcc_lo
	v_add_co_u32 v28, vcc_lo, s8, v28
	s_wait_alu 0xfffd
	v_add_co_ci_u32_e32 v29, vcc_lo, s9, v29, vcc_lo
	s_clause 0x7
	global_load_b128 v[40:43], v[30:31], off offset:5120
	global_load_b128 v[32:35], v[30:31], off offset:5104
	;; [unrolled: 1-line block ×8, first 2 shown]
	v_add_co_u32 v117, vcc_lo, s6, v110
	s_wait_alu 0xfffd
	v_add_co_ci_u32_e32 v119, vcc_lo, s7, v111, vcc_lo
	v_mad_co_u64_u32 v[110:111], null, s16, v122, 0
	s_delay_alu instid0(VALU_DEP_3) | instskip(SKIP_1) | instid1(VALU_DEP_3)
	v_add_co_u32 v178, vcc_lo, v117, v108
	s_wait_alu 0xfffd
	v_add_co_ci_u32_e32 v179, vcc_lo, v119, v109, vcc_lo
	v_mad_co_u64_u32 v[108:109], null, s16, v139, 0
	s_delay_alu instid0(VALU_DEP_4)
	v_mad_co_u64_u32 v[122:123], null, s17, v122, v[111:112]
	v_dual_mov_b32 v111, v113 :: v_dual_add_nc_u32 v90, 0x2000, v124
	ds_load_b64 v[106:107], v124 offset:12320
	ds_load_2addr_b64 v[28:31], v124 offset1:110
	v_mad_co_u64_u32 v[139:140], null, s17, v139, v[109:110]
	v_add_nc_u32_e32 v100, 0x1400, v124
	v_mad_co_u64_u32 v[118:119], null, s16, v144, 0
	v_add_nc_u32_e32 v82, 0x1800, v124
	v_mad_co_u64_u32 v[140:141], null, s17, v141, v[111:112]
	v_add_nc_u32_e32 v104, 0x2800, v124
	v_mad_co_u64_u32 v[123:124], null, s16, v146, 0
	v_mov_b32_e32 v109, v119
	v_mov_b32_e32 v113, v115
	;; [unrolled: 1-line block ×3, first 2 shown]
	v_mad_co_u64_u32 v[133:134], null, s16, v151, 0
	v_dual_mov_b32 v119, v124 :: v_dual_mov_b32 v124, v128
	v_mov_b32_e32 v128, v132
	v_mad_co_u64_u32 v[116:117], null, s16, v143, 0
	v_mad_co_u64_u32 v[141:142], null, s17, v142, v[113:114]
	v_mov_b32_e32 v113, v121
	ds_load_2addr_b64 v[82:85], v82 offset0:112 offset1:222
	ds_load_2addr_b64 v[86:89], v86 offset0:56 offset1:166
	;; [unrolled: 1-line block ×4, first 2 shown]
	v_mad_co_u64_u32 v[121:122], null, s17, v144, v[109:110]
	v_mov_b32_e32 v115, v117
	v_mov_b32_e32 v109, v139
	ds_load_2addr_b64 v[98:101], v100 offset0:20 offset1:130
	v_mov_b32_e32 v122, v126
	v_mov_b32_e32 v126, v130
	v_mad_co_u64_u32 v[142:143], null, s17, v143, v[115:116]
	v_mad_co_u64_u32 v[143:144], null, s17, v145, v[113:114]
	v_mov_b32_e32 v113, v140
	ds_load_2addr_b64 v[102:105], v104 offset0:40 offset1:150
	v_mov_b32_e32 v130, v134
	v_dual_mov_b32 v134, v138 :: v_dual_mov_b32 v117, v142
	v_mad_co_u64_u32 v[138:139], null, s17, v146, v[119:120]
	v_mad_co_u64_u32 v[139:140], null, s17, v147, v[122:123]
	v_mov_b32_e32 v115, v141
	v_mov_b32_e32 v119, v121
	;; [unrolled: 1-line block ×3, first 2 shown]
	v_mad_co_u64_u32 v[140:141], null, s17, v148, v[124:125]
	v_mov_b32_e32 v132, v136
	v_mad_co_u64_u32 v[144:145], null, s17, v150, v[128:129]
	v_mad_co_u64_u32 v[145:146], null, s17, v151, v[130:131]
	s_delay_alu instid0(VALU_DEP_3)
	v_mad_co_u64_u32 v[146:147], null, s17, v152, v[132:133]
	v_mad_co_u64_u32 v[141:142], null, s17, v149, v[126:127]
	v_mov_b32_e32 v124, v138
	v_mad_co_u64_u32 v[147:148], null, s17, v153, v[134:135]
	v_mov_b32_e32 v126, v139
	v_mov_b32_e32 v128, v140
	v_lshlrev_b64_e32 v[110:111], 4, v[110:111]
	v_lshlrev_b64_e32 v[108:109], 4, v[108:109]
	;; [unrolled: 1-line block ×4, first 2 shown]
	v_mov_b32_e32 v130, v141
	v_mov_b32_e32 v132, v144
	v_add_co_u32 v110, vcc_lo, v178, v110
	s_wait_alu 0xfffd
	v_add_co_ci_u32_e32 v111, vcc_lo, v179, v111, vcc_lo
	v_add_co_u32 v108, vcc_lo, v178, v108
	s_wait_alu 0xfffd
	v_add_co_ci_u32_e32 v109, vcc_lo, v179, v109, vcc_lo
	;; [unrolled: 3-line block ×3, first 2 shown]
	v_lshlrev_b64_e32 v[116:117], 4, v[116:117]
	v_lshlrev_b64_e32 v[118:119], 4, v[118:119]
	;; [unrolled: 1-line block ×3, first 2 shown]
	v_mov_b32_e32 v134, v145
	v_mov_b32_e32 v136, v146
	;; [unrolled: 1-line block ×3, first 2 shown]
	s_wait_loadcnt 0xb
	v_mul_f64_e32 v[150:151], v[80:81], v[50:51]
	s_wait_loadcnt 0xa
	v_mul_f64_e32 v[148:149], v[22:23], v[54:55]
	;; [unrolled: 2-line block ×4, first 2 shown]
	s_wait_dscnt 0x5
	v_mul_f64_e32 v[62:63], v[82:83], v[62:63]
	s_wait_dscnt 0x3
	v_mul_f64_e32 v[54:55], v[92:93], v[54:55]
	v_mul_f64_e32 v[58:59], v[88:89], v[58:59]
	;; [unrolled: 1-line block ×3, first 2 shown]
	s_wait_loadcnt 0x7
	v_mul_f64_e32 v[152:153], v[14:15], v[42:43]
	s_wait_loadcnt 0x6
	v_mul_f64_e32 v[154:155], v[16:17], v[34:35]
	;; [unrolled: 2-line block ×8, first 2 shown]
	s_wait_dscnt 0x1
	v_mul_f64_e32 v[66:67], v[98:99], v[66:67]
	v_mul_f64_e32 v[78:79], v[84:85], v[78:79]
	v_mul_f64_e32 v[70:71], v[96:97], v[70:71]
	s_wait_dscnt 0x0
	v_mul_f64_e32 v[74:75], v[102:103], v[74:75]
	v_mul_f64_e32 v[42:43], v[100:101], v[42:43]
	v_mul_f64_e32 v[46:47], v[90:91], v[46:47]
	v_mul_f64_e32 v[34:35], v[86:87], v[34:35]
	v_mul_f64_e32 v[38:39], v[104:105], v[38:39]
	v_fma_f64 v[106:107], v[106:107], v[48:49], -v[150:151]
	v_fma_f64 v[92:93], v[92:93], v[52:53], -v[148:149]
	;; [unrolled: 1-line block ×4, first 2 shown]
	v_fma_f64 v[24:25], v[24:25], v[60:61], v[62:63]
	v_fma_f64 v[22:23], v[22:23], v[52:53], v[54:55]
	;; [unrolled: 1-line block ×4, first 2 shown]
	v_fma_f64 v[50:51], v[100:101], v[40:41], -v[152:153]
	v_fma_f64 v[52:53], v[86:87], v[32:33], -v[154:155]
	;; [unrolled: 1-line block ×8, first 2 shown]
	v_fma_f64 v[12:13], v[12:13], v[64:65], v[66:67]
	v_fma_f64 v[26:27], v[26:27], v[76:77], v[78:79]
	;; [unrolled: 1-line block ×8, first 2 shown]
	v_add_co_u32 v64, vcc_lo, v178, v114
	s_wait_alu 0xfffd
	v_add_co_ci_u32_e32 v65, vcc_lo, v179, v115, vcc_lo
	v_lshlrev_b64_e32 v[32:33], 4, v[123:124]
	v_lshlrev_b64_e32 v[34:35], 4, v[125:126]
	v_lshlrev_b64_e32 v[68:69], 4, v[127:128]
	v_lshlrev_b64_e32 v[70:71], 4, v[129:130]
	v_lshlrev_b64_e32 v[72:73], 4, v[131:132]
	v_add_co_u32 v66, vcc_lo, v178, v116
	s_wait_alu 0xfffd
	v_add_co_ci_u32_e32 v67, vcc_lo, v179, v117, vcc_lo
	v_add_co_u32 v84, vcc_lo, v178, v118
	s_wait_alu 0xfffd
	v_add_co_ci_u32_e32 v85, vcc_lo, v179, v119, vcc_lo
	v_add_f64_e32 v[36:37], v[88:89], v[106:107]
	v_add_f64_e32 v[40:41], v[82:83], v[92:93]
	;; [unrolled: 1-line block ×3, first 2 shown]
	v_add_co_u32 v86, vcc_lo, v178, v120
	v_add_f64_e32 v[128:129], v[18:19], v[48:49]
	v_lshlrev_b64_e32 v[74:75], 4, v[133:134]
	v_add_f64_e32 v[90:91], v[50:51], v[54:55]
	v_add_f64_e32 v[44:45], v[52:53], v[56:57]
	v_lshlrev_b64_e32 v[76:77], 4, v[135:136]
	s_wait_alu 0xfffd
	v_add_co_ci_u32_e32 v87, vcc_lo, v179, v121, vcc_lo
	v_add_f64_e32 v[96:97], v[60:61], v[80:81]
	v_add_f64_e32 v[100:101], v[58:59], v[62:63]
	;; [unrolled: 1-line block ×3, first 2 shown]
	v_add_f64_e64 v[98:99], v[18:19], -v[48:49]
	v_add_f64_e32 v[114:115], v[2:3], v[8:9]
	v_add_f64_e64 v[120:121], v[24:25], -v[18:19]
	v_add_f64_e32 v[122:123], v[14:15], v[20:21]
	;; [unrolled: 2-line block ×3, first 2 shown]
	v_add_f64_e32 v[18:19], v[0:1], v[18:19]
	v_add_f64_e32 v[150:151], v[52:53], v[30:31]
	;; [unrolled: 1-line block ×5, first 2 shown]
	v_lshlrev_b64_e32 v[78:79], 4, v[137:138]
	v_add_f64_e64 v[38:39], v[82:83], -v[88:89]
	v_add_f64_e64 v[42:43], v[92:93], -v[106:107]
	;; [unrolled: 1-line block ×5, first 2 shown]
	v_add_f64_e32 v[118:119], v[88:89], v[94:95]
	v_add_f64_e64 v[136:137], v[48:49], -v[22:23]
	v_add_f64_e64 v[162:163], v[2:3], -v[8:9]
	;; [unrolled: 1-line block ×5, first 2 shown]
	v_fma_f64 v[36:37], v[36:37], -0.5, v[94:95]
	v_fma_f64 v[40:41], v[40:41], -0.5, v[94:95]
	v_add_f64_e64 v[94:95], v[12:13], -v[26:27]
	v_add_f64_e64 v[138:139], v[50:51], -v[52:53]
	;; [unrolled: 1-line block ×5, first 2 shown]
	v_fma_f64 v[128:129], v[128:129], -0.5, v[0:1]
	v_fma_f64 v[44:45], v[44:45], -0.5, v[30:31]
	;; [unrolled: 1-line block ×4, first 2 shown]
	v_add_f64_e64 v[132:133], v[82:83], -v[92:93]
	v_fma_f64 v[90:91], v[96:97], -0.5, v[28:29]
	v_add_f64_e64 v[96:97], v[60:61], -v[80:81]
	v_fma_f64 v[28:29], v[100:101], -0.5, v[28:29]
	v_fma_f64 v[104:105], v[104:105], -0.5, v[4:5]
	v_add_f64_e64 v[100:101], v[58:59], -v[62:63]
	v_fma_f64 v[4:5], v[114:115], -0.5, v[4:5]
	;; [unrolled: 3-line block ×3, first 2 shown]
	v_add_f64_e64 v[152:153], v[14:15], -v[16:17]
	v_add_f64_e64 v[16:17], v[16:17], -v[14:15]
	;; [unrolled: 1-line block ×4, first 2 shown]
	v_add_f64_e32 v[18:19], v[24:25], v[18:19]
	v_add_f64_e32 v[24:25], v[50:51], v[150:151]
	;; [unrolled: 1-line block ×5, first 2 shown]
	v_add_f64_e64 v[140:141], v[54:55], -v[56:57]
	v_add_f64_e64 v[148:149], v[56:57], -v[54:55]
	;; [unrolled: 1-line block ×7, first 2 shown]
	v_add_f64_e32 v[38:39], v[38:39], v[42:43]
	v_add_f64_e32 v[42:43], v[102:103], v[116:117]
	;; [unrolled: 1-line block ×4, first 2 shown]
	v_fma_f64 v[58:59], v[46:47], s[18:19], v[36:37]
	v_fma_f64 v[36:37], v[46:47], s[4:5], v[36:37]
	;; [unrolled: 1-line block ×4, first 2 shown]
	v_add_f64_e64 v[170:171], v[26:27], -v[8:9]
	v_add_f64_e32 v[102:103], v[120:121], v[126:127]
	v_fma_f64 v[120:121], v[142:143], s[18:19], v[44:45]
	v_fma_f64 v[44:45], v[142:143], s[4:5], v[44:45]
	;; [unrolled: 1-line block ×11, first 2 shown]
	v_add_f64_e64 v[164:165], v[10:11], -v[20:21]
	v_fma_f64 v[30:31], v[144:145], s[18:19], v[30:31]
	v_fma_f64 v[158:159], v[52:53], s[4:5], v[122:123]
	v_add_f64_e64 v[154:155], v[20:21], -v[10:11]
	v_fma_f64 v[160:161], v[114:115], s[18:19], v[6:7]
	v_fma_f64 v[6:7], v[114:115], s[4:5], v[6:7]
	;; [unrolled: 1-line block ×7, first 2 shown]
	v_add_f64_e32 v[14:15], v[14:15], v[20:21]
	v_add_f64_e32 v[20:21], v[62:63], v[50:51]
	;; [unrolled: 1-line block ×11, first 2 shown]
	v_fma_f64 v[26:27], v[98:99], s[14:15], v[36:37]
	v_fma_f64 v[36:37], v[46:47], s[10:11], v[118:119]
	;; [unrolled: 1-line block ×3, first 2 shown]
	v_add_f64_e32 v[130:131], v[168:169], v[170:171]
	v_fma_f64 v[24:25], v[98:99], s[10:11], v[58:59]
	v_fma_f64 v[46:47], v[144:145], s[10:11], v[120:121]
	;; [unrolled: 1-line block ×12, first 2 shown]
	v_add_f64_e32 v[16:17], v[16:17], v[164:165]
	v_fma_f64 v[96:97], v[142:143], s[14:15], v[30:31]
	v_fma_f64 v[98:99], v[114:115], s[10:11], v[158:159]
	v_add_f64_e32 v[146:147], v[152:153], v[154:155]
	v_fma_f64 v[100:101], v[52:53], s[10:11], v[160:161]
	v_fma_f64 v[104:105], v[52:53], s[14:15], v[6:7]
	;; [unrolled: 1-line block ×7, first 2 shown]
	v_add_co_u32 v126, vcc_lo, v178, v32
	s_wait_alu 0xfffd
	v_add_co_ci_u32_e32 v127, vcc_lo, v179, v33, vcc_lo
	v_add_co_u32 v128, vcc_lo, v178, v34
	v_add_f64_e32 v[4:5], v[14:15], v[10:11]
	v_add_f64_e32 v[10:11], v[80:81], v[20:21]
	;; [unrolled: 1-line block ×5, first 2 shown]
	v_fma_f64 v[18:19], v[38:39], s[12:13], v[26:27]
	v_fma_f64 v[22:23], v[42:43], s[12:13], v[36:37]
	;; [unrolled: 1-line block ×3, first 2 shown]
	s_wait_alu 0xfffd
	v_add_co_ci_u32_e32 v129, vcc_lo, v179, v35, vcc_lo
	v_fma_f64 v[30:31], v[138:139], s[12:13], v[46:47]
	v_fma_f64 v[34:35], v[138:139], s[12:13], v[44:45]
	;; [unrolled: 1-line block ×14, first 2 shown]
	v_add_f64_e32 v[2:3], v[106:107], v[2:3]
	v_fma_f64 v[32:33], v[146:147], s[12:13], v[100:101]
	v_fma_f64 v[28:29], v[146:147], s[12:13], v[104:105]
	;; [unrolled: 1-line block ×7, first 2 shown]
	v_add_co_u32 v60, vcc_lo, v178, v68
	s_wait_alu 0xfffd
	v_add_co_ci_u32_e32 v61, vcc_lo, v179, v69, vcc_lo
	v_add_co_u32 v62, vcc_lo, v178, v70
	s_wait_alu 0xfffd
	v_add_co_ci_u32_e32 v63, vcc_lo, v179, v71, vcc_lo
	;; [unrolled: 3-line block ×6, first 2 shown]
	s_clause 0xe
	global_store_b128 v[110:111], v[8:11], off
	global_store_b128 v[108:109], v[52:55], off
	;; [unrolled: 1-line block ×15, first 2 shown]
.LBB0_29:
	s_nop 0
	s_sendmsg sendmsg(MSG_DEALLOC_VGPRS)
	s_endpgm
	.section	.rodata,"a",@progbits
	.p2align	6, 0x0
	.amdhsa_kernel fft_rtc_back_len1650_factors_11_2_3_5_5_wgs_110_tpt_110_halfLds_dp_op_CI_CI_sbrr_dirReg
		.amdhsa_group_segment_fixed_size 0
		.amdhsa_private_segment_fixed_size 0
		.amdhsa_kernarg_size 104
		.amdhsa_user_sgpr_count 2
		.amdhsa_user_sgpr_dispatch_ptr 0
		.amdhsa_user_sgpr_queue_ptr 0
		.amdhsa_user_sgpr_kernarg_segment_ptr 1
		.amdhsa_user_sgpr_dispatch_id 0
		.amdhsa_user_sgpr_private_segment_size 0
		.amdhsa_wavefront_size32 1
		.amdhsa_uses_dynamic_stack 0
		.amdhsa_enable_private_segment 0
		.amdhsa_system_sgpr_workgroup_id_x 1
		.amdhsa_system_sgpr_workgroup_id_y 0
		.amdhsa_system_sgpr_workgroup_id_z 0
		.amdhsa_system_sgpr_workgroup_info 0
		.amdhsa_system_vgpr_workitem_id 0
		.amdhsa_next_free_vgpr 209
		.amdhsa_next_free_sgpr 43
		.amdhsa_reserve_vcc 1
		.amdhsa_float_round_mode_32 0
		.amdhsa_float_round_mode_16_64 0
		.amdhsa_float_denorm_mode_32 3
		.amdhsa_float_denorm_mode_16_64 3
		.amdhsa_fp16_overflow 0
		.amdhsa_workgroup_processor_mode 1
		.amdhsa_memory_ordered 1
		.amdhsa_forward_progress 0
		.amdhsa_round_robin_scheduling 0
		.amdhsa_exception_fp_ieee_invalid_op 0
		.amdhsa_exception_fp_denorm_src 0
		.amdhsa_exception_fp_ieee_div_zero 0
		.amdhsa_exception_fp_ieee_overflow 0
		.amdhsa_exception_fp_ieee_underflow 0
		.amdhsa_exception_fp_ieee_inexact 0
		.amdhsa_exception_int_div_zero 0
	.end_amdhsa_kernel
	.text
.Lfunc_end0:
	.size	fft_rtc_back_len1650_factors_11_2_3_5_5_wgs_110_tpt_110_halfLds_dp_op_CI_CI_sbrr_dirReg, .Lfunc_end0-fft_rtc_back_len1650_factors_11_2_3_5_5_wgs_110_tpt_110_halfLds_dp_op_CI_CI_sbrr_dirReg
                                        ; -- End function
	.section	.AMDGPU.csdata,"",@progbits
; Kernel info:
; codeLenInByte = 16316
; NumSgprs: 45
; NumVgprs: 209
; ScratchSize: 0
; MemoryBound: 1
; FloatMode: 240
; IeeeMode: 1
; LDSByteSize: 0 bytes/workgroup (compile time only)
; SGPRBlocks: 5
; VGPRBlocks: 26
; NumSGPRsForWavesPerEU: 45
; NumVGPRsForWavesPerEU: 209
; Occupancy: 7
; WaveLimiterHint : 1
; COMPUTE_PGM_RSRC2:SCRATCH_EN: 0
; COMPUTE_PGM_RSRC2:USER_SGPR: 2
; COMPUTE_PGM_RSRC2:TRAP_HANDLER: 0
; COMPUTE_PGM_RSRC2:TGID_X_EN: 1
; COMPUTE_PGM_RSRC2:TGID_Y_EN: 0
; COMPUTE_PGM_RSRC2:TGID_Z_EN: 0
; COMPUTE_PGM_RSRC2:TIDIG_COMP_CNT: 0
	.text
	.p2alignl 7, 3214868480
	.fill 96, 4, 3214868480
	.type	__hip_cuid_3f9708cc25080578,@object ; @__hip_cuid_3f9708cc25080578
	.section	.bss,"aw",@nobits
	.globl	__hip_cuid_3f9708cc25080578
__hip_cuid_3f9708cc25080578:
	.byte	0                               ; 0x0
	.size	__hip_cuid_3f9708cc25080578, 1

	.ident	"AMD clang version 19.0.0git (https://github.com/RadeonOpenCompute/llvm-project roc-6.4.0 25133 c7fe45cf4b819c5991fe208aaa96edf142730f1d)"
	.section	".note.GNU-stack","",@progbits
	.addrsig
	.addrsig_sym __hip_cuid_3f9708cc25080578
	.amdgpu_metadata
---
amdhsa.kernels:
  - .args:
      - .actual_access:  read_only
        .address_space:  global
        .offset:         0
        .size:           8
        .value_kind:     global_buffer
      - .offset:         8
        .size:           8
        .value_kind:     by_value
      - .actual_access:  read_only
        .address_space:  global
        .offset:         16
        .size:           8
        .value_kind:     global_buffer
      - .actual_access:  read_only
        .address_space:  global
        .offset:         24
        .size:           8
        .value_kind:     global_buffer
      - .actual_access:  read_only
        .address_space:  global
        .offset:         32
        .size:           8
        .value_kind:     global_buffer
      - .offset:         40
        .size:           8
        .value_kind:     by_value
      - .actual_access:  read_only
        .address_space:  global
        .offset:         48
        .size:           8
        .value_kind:     global_buffer
      - .actual_access:  read_only
        .address_space:  global
        .offset:         56
        .size:           8
        .value_kind:     global_buffer
      - .offset:         64
        .size:           4
        .value_kind:     by_value
      - .actual_access:  read_only
        .address_space:  global
        .offset:         72
        .size:           8
        .value_kind:     global_buffer
      - .actual_access:  read_only
        .address_space:  global
        .offset:         80
        .size:           8
        .value_kind:     global_buffer
      - .actual_access:  read_only
        .address_space:  global
        .offset:         88
        .size:           8
        .value_kind:     global_buffer
      - .actual_access:  write_only
        .address_space:  global
        .offset:         96
        .size:           8
        .value_kind:     global_buffer
    .group_segment_fixed_size: 0
    .kernarg_segment_align: 8
    .kernarg_segment_size: 104
    .language:       OpenCL C
    .language_version:
      - 2
      - 0
    .max_flat_workgroup_size: 110
    .name:           fft_rtc_back_len1650_factors_11_2_3_5_5_wgs_110_tpt_110_halfLds_dp_op_CI_CI_sbrr_dirReg
    .private_segment_fixed_size: 0
    .sgpr_count:     45
    .sgpr_spill_count: 0
    .symbol:         fft_rtc_back_len1650_factors_11_2_3_5_5_wgs_110_tpt_110_halfLds_dp_op_CI_CI_sbrr_dirReg.kd
    .uniform_work_group_size: 1
    .uses_dynamic_stack: false
    .vgpr_count:     209
    .vgpr_spill_count: 0
    .wavefront_size: 32
    .workgroup_processor_mode: 1
amdhsa.target:   amdgcn-amd-amdhsa--gfx1201
amdhsa.version:
  - 1
  - 2
...

	.end_amdgpu_metadata
